;; amdgpu-corpus repo=ROCm/rocFFT kind=compiled arch=gfx1100 opt=O3
	.text
	.amdgcn_target "amdgcn-amd-amdhsa--gfx1100"
	.amdhsa_code_object_version 6
	.protected	bluestein_single_back_len1053_dim1_dp_op_CI_CI ; -- Begin function bluestein_single_back_len1053_dim1_dp_op_CI_CI
	.globl	bluestein_single_back_len1053_dim1_dp_op_CI_CI
	.p2align	8
	.type	bluestein_single_back_len1053_dim1_dp_op_CI_CI,@function
bluestein_single_back_len1053_dim1_dp_op_CI_CI: ; @bluestein_single_back_len1053_dim1_dp_op_CI_CI
; %bb.0:
	s_load_b128 s[16:19], s[0:1], 0x28
	v_mul_u32_u24_e32 v1, 0x231, v0
	s_mov_b32 s2, exec_lo
	v_mov_b32_e32 v8, 0
	s_delay_alu instid0(VALU_DEP_2) | instskip(NEXT) | instid1(VALU_DEP_1)
	v_lshrrev_b32_e32 v1, 16, v1
	v_add_nc_u32_e32 v7, s15, v1
	s_waitcnt lgkmcnt(0)
	s_delay_alu instid0(VALU_DEP_1)
	v_cmpx_gt_u64_e64 s[16:17], v[7:8]
	s_cbranch_execz .LBB0_10
; %bb.1:
	s_clause 0x1
	s_load_b128 s[4:7], s[0:1], 0x18
	s_load_b128 s[8:11], s[0:1], 0x0
	v_mul_lo_u16 v1, 0x75, v1
	v_mov_b32_e32 v5, v7
                                        ; implicit-def: $vgpr112_vgpr113
	s_delay_alu instid0(VALU_DEP_2)
	v_sub_nc_u16 v0, v0, v1
	scratch_store_b64 off, v[5:6], off      ; 8-byte Folded Spill
	v_and_b32_e32 v227, 0xffff, v0
	s_waitcnt lgkmcnt(0)
	s_load_b128 s[12:15], s[4:5], 0x0
	s_waitcnt lgkmcnt(0)
	v_mad_u64_u32 v[1:2], null, s14, v7, 0
	v_mad_u64_u32 v[3:4], null, s12, v227, 0
	s_mul_i32 s3, s13, 0x15f0
	s_mul_hi_u32 s4, s12, 0x15f0
	s_mul_i32 s2, s12, 0x15f0
	s_add_i32 s3, s4, s3
	s_delay_alu instid0(VALU_DEP_1) | instskip(NEXT) | instid1(VALU_DEP_1)
	v_mad_u64_u32 v[5:6], null, s15, v7, v[2:3]
	v_mov_b32_e32 v2, v5
	s_delay_alu instid0(VALU_DEP_3)
	v_mad_u64_u32 v[6:7], null, s13, v227, v[4:5]
	v_lshlrev_b32_e32 v176, 4, v227
	s_clause 0x1
	global_load_b128 v[73:76], v176, s[8:9]
	global_load_b128 v[77:80], v176, s[8:9] offset:1872
	v_mov_b32_e32 v4, v6
	v_lshlrev_b64 v[1:2], 4, v[1:2]
	v_add_co_u32 v7, s4, s8, v176
	s_delay_alu instid0(VALU_DEP_1) | instskip(NEXT) | instid1(VALU_DEP_4)
	v_add_co_ci_u32_e64 v8, null, s9, 0, s4
	v_lshlrev_b64 v[3:4], 4, v[3:4]
	s_delay_alu instid0(VALU_DEP_4) | instskip(SKIP_2) | instid1(VALU_DEP_2)
	v_add_co_u32 v1, vcc_lo, s18, v1
	v_add_co_ci_u32_e32 v2, vcc_lo, s19, v2, vcc_lo
	s_mul_i32 s4, s13, 0xffffdb70
	v_add_co_u32 v1, vcc_lo, v1, v3
	s_delay_alu instid0(VALU_DEP_2) | instskip(SKIP_1) | instid1(VALU_DEP_2)
	v_add_co_ci_u32_e32 v2, vcc_lo, v2, v4, vcc_lo
	s_sub_i32 s4, s4, s12
	v_add_co_u32 v5, vcc_lo, v1, s2
	s_delay_alu instid0(VALU_DEP_2)
	v_add_co_ci_u32_e32 v6, vcc_lo, s3, v2, vcc_lo
	global_load_b128 v[81:84], v176, s[8:9] offset:3744
	v_add_co_u32 v9, vcc_lo, v5, s2
	v_add_co_ci_u32_e32 v10, vcc_lo, s3, v6, vcc_lo
	v_add_co_u32 v3, vcc_lo, 0x1000, v7
	v_add_co_ci_u32_e32 v4, vcc_lo, 0, v8, vcc_lo
	s_delay_alu instid0(VALU_DEP_3) | instskip(SKIP_3) | instid1(VALU_DEP_3)
	v_mad_u64_u32 v[13:14], null, 0xffffdb70, s12, v[9:10]
	v_add_co_u32 v255, null, 0x75, v227
	v_add_co_u32 v215, null, 0xea, v227
	s_mov_b32 s13, 0xbfebb67a
	v_add_nc_u32_e32 v14, s4, v14
	s_delay_alu instid0(VALU_DEP_4) | instskip(NEXT) | instid1(VALU_DEP_3)
	v_add_co_u32 v17, vcc_lo, v13, s2
	v_and_b32_e32 v157, 0xffff, v215
	s_delay_alu instid0(VALU_DEP_3) | instskip(SKIP_3) | instid1(VALU_DEP_4)
	v_add_co_ci_u32_e32 v18, vcc_lo, s3, v14, vcc_lo
	v_add_co_u32 v29, vcc_lo, 0x2000, v7
	v_add_co_ci_u32_e32 v30, vcc_lo, 0, v8, vcc_lo
	v_add_co_u32 v21, vcc_lo, v17, s2
	v_add_co_ci_u32_e32 v22, vcc_lo, s3, v18, vcc_lo
	global_load_b128 v[93:96], v[29:30], off offset:3040
	v_add_co_u32 v33, vcc_lo, 0x3000, v7
	v_mad_u64_u32 v[25:26], null, 0xffffdb70, s12, v[21:22]
	v_add_co_ci_u32_e32 v34, vcc_lo, 0, v8, vcc_lo
	s_clause 0x2
	global_load_b128 v[97:100], v[3:4], off offset:1520
	global_load_b128 v[89:92], v[3:4], off offset:3392
	;; [unrolled: 1-line block ×3, first 2 shown]
	s_clause 0x3
	global_load_b128 v[1:4], v[1:2], off
	global_load_b128 v[5:8], v[5:6], off
	;; [unrolled: 1-line block ×6, first 2 shown]
	v_add_nc_u32_e32 v26, s4, v26
	v_add_co_u32 v31, vcc_lo, v25, s2
	s_delay_alu instid0(VALU_DEP_2) | instskip(NEXT) | instid1(VALU_DEP_2)
	v_add_co_ci_u32_e32 v32, vcc_lo, s3, v26, vcc_lo
	v_add_co_u32 v35, vcc_lo, v31, s2
	s_delay_alu instid0(VALU_DEP_2)
	v_add_co_ci_u32_e32 v36, vcc_lo, s3, v32, vcc_lo
	global_load_b128 v[25:28], v[25:26], off
	global_load_b128 v[101:104], v[29:30], off offset:1168
	global_load_b128 v[29:32], v[31:32], off
	global_load_b128 v[105:108], v[33:34], off offset:2688
	global_load_b128 v[33:36], v[35:36], off
	s_load_b128 s[4:7], s[6:7], 0x0
	s_mov_b32 s2, 0xe8584caa
	s_mov_b32 s3, 0x3febb67a
	s_mov_b32 s12, s2
	v_cmp_gt_u16_e32 vcc_lo, 0x51, v0
	s_waitcnt vmcnt(17)
	scratch_store_b128 off, v[73:76], off offset:8 ; 16-byte Folded Spill
	s_waitcnt vmcnt(16)
	scratch_store_b128 off, v[77:80], off offset:24 ; 16-byte Folded Spill
	;; [unrolled: 2-line block ×7, first 2 shown]
	s_waitcnt vmcnt(10)
	v_mul_f64 v[37:38], v[3:4], v[75:76]
	v_mul_f64 v[39:40], v[1:2], v[75:76]
	s_waitcnt vmcnt(8)
	v_mul_f64 v[45:46], v[11:12], v[95:96]
	s_waitcnt vmcnt(7)
	v_mul_f64 v[49:50], v[15:16], v[79:80]
	v_mul_f64 v[51:52], v[13:14], v[79:80]
	;; [unrolled: 1-line block ×3, first 2 shown]
	s_waitcnt vmcnt(6)
	v_mul_f64 v[57:58], v[23:24], v[87:88]
	v_mul_f64 v[59:60], v[21:22], v[87:88]
	;; [unrolled: 1-line block ×4, first 2 shown]
	s_waitcnt vmcnt(5)
	v_mul_f64 v[53:54], v[19:20], v[91:92]
	v_mul_f64 v[55:56], v[17:18], v[91:92]
	s_waitcnt vmcnt(4)
	v_mul_f64 v[61:62], v[27:28], v[83:84]
	v_mul_f64 v[63:64], v[25:26], v[83:84]
	;; [unrolled: 3-line block ×4, first 2 shown]
	s_clause 0x1
	scratch_store_b128 off, v[101:104], off offset:120
	scratch_store_b128 off, v[105:108], off offset:136
	v_fma_f64 v[1:2], v[1:2], v[73:74], v[37:38]
	v_fma_f64 v[3:4], v[3:4], v[73:74], -v[39:40]
	v_fma_f64 v[9:10], v[9:10], v[93:94], v[45:46]
	v_fma_f64 v[13:14], v[13:14], v[77:78], v[49:50]
	v_fma_f64 v[15:16], v[15:16], v[77:78], -v[51:52]
	v_fma_f64 v[11:12], v[11:12], v[93:94], -v[47:48]
	v_fma_f64 v[21:22], v[21:22], v[85:86], v[57:58]
	v_fma_f64 v[23:24], v[23:24], v[85:86], -v[59:60]
	v_fma_f64 v[5:6], v[5:6], v[97:98], v[41:42]
	;; [unrolled: 2-line block ×6, first 2 shown]
	v_fma_f64 v[35:36], v[35:36], v[105:106], -v[71:72]
	ds_store_b128 v176, v[1:4]
	ds_store_b128 v176, v[13:16] offset:1872
	ds_store_b128 v176, v[9:12] offset:11232
	;; [unrolled: 1-line block ×8, first 2 shown]
	s_waitcnt lgkmcnt(0)
	s_waitcnt_vscnt null, 0x0
	s_barrier
	buffer_gl0_inv
	ds_load_b128 v[1:4], v176 offset:5616
	ds_load_b128 v[5:8], v176 offset:11232
	;; [unrolled: 1-line block ×7, first 2 shown]
	ds_load_b128 v[29:32], v176
	ds_load_b128 v[33:36], v176 offset:1872
	s_waitcnt lgkmcnt(0)
	s_barrier
	buffer_gl0_inv
	v_add_f64 v[37:38], v[1:2], v[5:6]
	v_add_f64 v[39:40], v[3:4], v[7:8]
	;; [unrolled: 1-line block ×7, first 2 shown]
	v_add_f64 v[51:52], v[3:4], -v[7:8]
	v_add_f64 v[3:4], v[31:32], v[3:4]
	v_add_f64 v[53:54], v[33:34], v[13:14]
	;; [unrolled: 1-line block ×5, first 2 shown]
	v_add_f64 v[61:62], v[17:18], -v[21:22]
	v_fma_f64 v[29:30], v[37:38], -0.5, v[29:30]
	v_add_f64 v[37:38], v[1:2], -v[5:6]
	v_fma_f64 v[31:32], v[39:40], -0.5, v[31:32]
	;; [unrolled: 2-line block ×5, first 2 shown]
	v_fma_f64 v[47:48], v[47:48], -0.5, v[27:28]
	v_and_b32_e32 v1, 0xff, v0
	v_and_b32_e32 v2, 0xff, v255
	v_add_f64 v[3:4], v[3:4], v[7:8]
	v_add_f64 v[7:8], v[55:56], v[11:12]
	;; [unrolled: 1-line block ×3, first 2 shown]
	v_mul_lo_u16 v63, 0xab, v1
	v_mul_lo_u16 v64, 0xab, v2
	v_add_f64 v[1:2], v[49:50], v[5:6]
	v_add_f64 v[5:6], v[53:54], v[9:10]
	;; [unrolled: 1-line block ×3, first 2 shown]
	v_lshrrev_b16 v88, 9, v63
	v_lshrrev_b16 v89, 9, v64
	v_fma_f64 v[13:14], v[51:52], s[2:3], v[29:30]
	v_fma_f64 v[17:18], v[51:52], s[12:13], v[29:30]
	;; [unrolled: 1-line block ×12, first 2 shown]
	v_mul_u32_u24_e32 v37, 0xaaab, v157
	v_mul_lo_u16 v38, v0, 3
	v_mul_lo_u16 v39, v89, 3
	s_delay_alu instid0(VALU_DEP_3) | instskip(NEXT) | instid1(VALU_DEP_3)
	v_lshrrev_b32_e32 v90, 17, v37
	v_and_b32_e32 v37, 0xffff, v38
	v_mul_lo_u16 v38, v88, 3
	s_delay_alu instid0(VALU_DEP_3) | instskip(NEXT) | instid1(VALU_DEP_3)
	v_mul_lo_u16 v40, v90, 3
	v_lshlrev_b32_e32 v42, 4, v37
	s_delay_alu instid0(VALU_DEP_3)
	v_sub_nc_u16 v37, v0, v38
	v_sub_nc_u16 v38, v255, v39
	v_mul_u32_u24_e32 v39, 3, v255
	v_sub_nc_u16 v91, v215, v40
	v_mul_u32_u24_e32 v40, 3, v215
	v_and_b32_e32 v104, 0xff, v37
	v_and_b32_e32 v105, 0xff, v38
	v_lshlrev_b32_e32 v41, 4, v39
	v_lshlrev_b16 v37, 1, v91
	v_lshlrev_b32_e32 v40, 4, v40
	v_lshlrev_b32_e32 v38, 5, v104
	;; [unrolled: 1-line block ×3, first 2 shown]
	ds_store_b128 v42, v[1:4]
	ds_store_b128 v42, v[13:16] offset:16
	v_and_b32_e32 v37, 0xffff, v37
	scratch_store_b32 off, v42, off offset:176 ; 4-byte Folded Spill
	ds_store_b128 v42, v[17:20] offset:32
	ds_store_b128 v41, v[5:8]
	ds_store_b128 v41, v[21:24] offset:16
	scratch_store_b32 off, v41, off offset:172 ; 4-byte Folded Spill
	ds_store_b128 v41, v[25:28] offset:32
	ds_store_b128 v40, v[9:12]
	ds_store_b128 v40, v[29:32] offset:16
	v_lshlrev_b32_e32 v1, 4, v37
	scratch_store_b32 off, v40, off offset:168 ; 4-byte Folded Spill
	ds_store_b128 v40, v[33:36] offset:32
	s_waitcnt lgkmcnt(0)
	s_waitcnt_vscnt null, 0x0
	s_barrier
	buffer_gl0_inv
	s_clause 0x5
	global_load_b128 v[60:63], v38, s[10:11]
	global_load_b128 v[56:59], v38, s[10:11] offset:16
	global_load_b128 v[48:51], v39, s[10:11]
	global_load_b128 v[40:43], v39, s[10:11] offset:16
	global_load_b128 v[44:47], v1, s[10:11]
	global_load_b128 v[36:39], v1, s[10:11] offset:16
	ds_load_b128 v[1:4], v176 offset:5616
	ds_load_b128 v[5:8], v176 offset:11232
	;; [unrolled: 1-line block ×7, first 2 shown]
	s_waitcnt vmcnt(3) lgkmcnt(4)
	v_mul_f64 v[54:55], v[11:12], v[50:51]
	v_mul_f64 v[29:30], v[3:4], v[62:63]
	;; [unrolled: 1-line block ×5, first 2 shown]
	s_waitcnt vmcnt(2) lgkmcnt(3)
	v_mul_f64 v[64:65], v[15:16], v[42:43]
	v_mul_f64 v[66:67], v[9:10], v[50:51]
	;; [unrolled: 1-line block ×3, first 2 shown]
	s_waitcnt vmcnt(1) lgkmcnt(2)
	v_mul_f64 v[70:71], v[19:20], v[46:47]
	s_waitcnt vmcnt(0) lgkmcnt(1)
	v_mul_f64 v[72:73], v[23:24], v[38:39]
	v_mul_f64 v[74:75], v[17:18], v[46:47]
	;; [unrolled: 1-line block ×3, first 2 shown]
	v_fma_f64 v[9:10], v[9:10], v[48:49], -v[54:55]
	v_fma_f64 v[29:30], v[1:2], v[60:61], -v[29:30]
	;; [unrolled: 1-line block ×3, first 2 shown]
	v_fma_f64 v[33:34], v[3:4], v[60:61], v[33:34]
	v_fma_f64 v[52:53], v[7:8], v[56:57], v[52:53]
	v_fma_f64 v[13:14], v[13:14], v[40:41], -v[64:65]
	v_fma_f64 v[11:12], v[11:12], v[48:49], v[66:67]
	v_fma_f64 v[15:16], v[15:16], v[40:41], v[68:69]
	v_fma_f64 v[17:18], v[17:18], v[44:45], -v[70:71]
	v_fma_f64 v[21:22], v[21:22], v[36:37], -v[72:73]
	v_fma_f64 v[19:20], v[19:20], v[44:45], v[74:75]
	v_fma_f64 v[23:24], v[23:24], v[36:37], v[76:77]
	ds_load_b128 v[1:4], v176
	ds_load_b128 v[5:8], v176 offset:1872
	s_waitcnt lgkmcnt(0)
	s_barrier
	buffer_gl0_inv
	v_add_f64 v[78:79], v[5:6], v[9:10]
	v_add_f64 v[74:75], v[1:2], v[29:30]
	;; [unrolled: 1-line block ×3, first 2 shown]
	v_add_f64 v[29:30], v[29:30], -v[31:32]
	v_add_f64 v[64:65], v[33:34], v[52:53]
	v_add_f64 v[66:67], v[9:10], v[13:14]
	v_add_f64 v[76:77], v[33:34], -v[52:53]
	v_add_f64 v[68:69], v[11:12], v[15:16]
	v_add_f64 v[33:34], v[3:4], v[33:34]
	;; [unrolled: 1-line block ×7, first 2 shown]
	v_add_f64 v[11:12], v[11:12], -v[15:16]
	v_add_f64 v[9:10], v[9:10], -v[13:14]
	v_add_f64 v[19:20], v[19:20], -v[23:24]
	v_add_f64 v[17:18], v[17:18], -v[21:22]
	v_add_f64 v[80:81], v[78:79], v[13:14]
	v_add_f64 v[100:101], v[74:75], v[31:32]
	v_fma_f64 v[1:2], v[54:55], -0.5, v[1:2]
	v_fma_f64 v[3:4], v[64:65], -0.5, v[3:4]
	;; [unrolled: 1-line block ×4, first 2 shown]
	v_add_f64 v[102:103], v[33:34], v[52:53]
	v_fma_f64 v[25:26], v[70:71], -0.5, v[25:26]
	v_add_f64 v[82:83], v[82:83], v[15:16]
	v_fma_f64 v[27:28], v[72:73], -0.5, v[27:28]
	v_add_f64 v[108:109], v[84:85], v[21:22]
	v_add_f64 v[110:111], v[86:87], v[23:24]
                                        ; implicit-def: $vgpr84_vgpr85
	v_fma_f64 v[64:65], v[76:77], s[2:3], v[1:2]
	v_fma_f64 v[76:77], v[76:77], s[12:13], v[1:2]
	;; [unrolled: 1-line block ×12, first 2 shown]
	s_load_b64 s[2:3], s[0:1], 0x38
	v_and_b32_e32 v1, 0xffff, v88
	v_and_b32_e32 v2, 0xffff, v89
	v_mad_u16 v3, v90, 9, v91
                                        ; implicit-def: $vgpr88_vgpr89
	s_delay_alu instid0(VALU_DEP_3) | instskip(NEXT) | instid1(VALU_DEP_3)
	v_mul_u32_u24_e32 v4, 9, v1
	v_mul_u32_u24_e32 v5, 9, v2
	s_delay_alu instid0(VALU_DEP_3) | instskip(NEXT) | instid1(VALU_DEP_3)
	v_and_b32_e32 v3, 0xffff, v3
	v_add_lshl_u32 v1, v4, v104, 4
	s_delay_alu instid0(VALU_DEP_3) | instskip(NEXT) | instid1(VALU_DEP_3)
	v_add_lshl_u32 v0, v5, v105, 4
	v_lshlrev_b32_e32 v228, 4, v3
	ds_store_b128 v1, v[100:103]
	ds_store_b128 v1, v[64:67] offset:48
	scratch_store_b32 off, v1, off offset:164 ; 4-byte Folded Spill
	ds_store_b128 v1, v[76:79] offset:96
	ds_store_b128 v0, v[80:83]
	ds_store_b128 v0, v[92:95] offset:48
	scratch_store_b32 off, v0, off offset:160 ; 4-byte Folded Spill
	ds_store_b128 v0, v[96:99] offset:96
	ds_store_b128 v228, v[108:111]
	ds_store_b128 v228, v[116:119] offset:48
	ds_store_b128 v228, v[120:123] offset:96
	s_waitcnt lgkmcnt(0)
	s_waitcnt_vscnt null, 0x0
	s_barrier
	buffer_gl0_inv
                                        ; implicit-def: $vgpr104_vgpr105
	s_and_saveexec_b32 s0, vcc_lo
	s_cbranch_execz .LBB0_3
; %bb.2:
	ds_load_b128 v[100:103], v176
	ds_load_b128 v[64:67], v176 offset:1296
	ds_load_b128 v[76:79], v176 offset:2592
	;; [unrolled: 1-line block ×12, first 2 shown]
.LBB0_3:
	s_or_b32 exec_lo, exec_lo, s0
	v_and_b32_e32 v0, 0xff, v227
	s_mov_b32 s14, 0x4267c47c
	s_mov_b32 s15, 0xbfddbe06
	;; [unrolled: 1-line block ×4, first 2 shown]
	v_mul_lo_u16 v0, v0, 57
	s_mov_b32 s13, 0x3fec55a7
	s_mov_b32 s17, 0xbfea55e2
	;; [unrolled: 1-line block ×4, first 2 shown]
	v_lshrrev_b16 v216, 9, v0
	s_mov_b32 s20, 0x66966769
	s_mov_b32 s21, 0xbfefc445
	;; [unrolled: 1-line block ×4, first 2 shown]
	v_mul_lo_u16 v0, v216, 9
	s_mov_b32 s26, 0x2ef20147
	s_mov_b32 s27, 0xbfedeba7
	;; [unrolled: 1-line block ×4, first 2 shown]
	v_sub_nc_u16 v0, v227, v0
	s_mov_b32 s46, 0x24c2f84
	s_mov_b32 s47, 0x3fe5384d
	;; [unrolled: 1-line block ×4, first 2 shown]
	v_and_b32_e32 v2, 0xff, v0
	s_mov_b32 s24, 0xd0032e0c
	s_mov_b32 s25, 0xbfe7f3cc
	;; [unrolled: 1-line block ×4, first 2 shown]
	v_mad_u64_u32 v[0:1], null, 0xc0, v2, s[10:11]
	scratch_store_b32 off, v2, off offset:152 ; 4-byte Folded Spill
	s_mov_b32 s28, 0x93053d00
	s_mov_b32 s29, 0xbfef11f4
	v_and_b32_e32 v156, 0xffff, v216
	s_mov_b32 s37, 0x3fefc445
	s_mov_b32 s36, s20
	s_clause 0x1
	global_load_b128 v[52:55], v[0:1], off offset:96
	global_load_b128 v[68:71], v[0:1], off offset:112
	s_mov_b32 s35, 0x3fddbe06
	s_mov_b32 s34, s14
	;; [unrolled: 1-line block ×8, first 2 shown]
	s_waitcnt vmcnt(1) lgkmcnt(11)
	v_mul_f64 v[2:3], v[64:65], v[54:55]
	s_delay_alu instid0(VALU_DEP_1) | instskip(SKIP_1) | instid1(VALU_DEP_1)
	v_fma_f64 v[199:200], v[66:67], v[52:53], v[2:3]
	v_mul_f64 v[2:3], v[66:67], v[54:55]
	v_fma_f64 v[201:202], v[64:65], v[52:53], -v[2:3]
	s_clause 0x1
	global_load_b128 v[64:67], v[0:1], off offset:272
	global_load_b128 v[72:75], v[0:1], off offset:256
	s_waitcnt vmcnt(1) lgkmcnt(0)
	v_mul_f64 v[2:3], v[88:89], v[66:67]
	s_delay_alu instid0(VALU_DEP_1) | instskip(SKIP_1) | instid1(VALU_DEP_2)
	v_fma_f64 v[158:159], v[90:91], v[64:65], v[2:3]
	v_mul_f64 v[2:3], v[90:91], v[66:67]
	v_add_f64 v[144:145], v[199:200], -v[158:159]
	s_delay_alu instid0(VALU_DEP_2) | instskip(SKIP_2) | instid1(VALU_DEP_4)
	v_fma_f64 v[160:161], v[88:89], v[64:65], -v[2:3]
	v_mul_f64 v[2:3], v[78:79], v[70:71]
	v_add_f64 v[146:147], v[199:200], v[158:159]
	v_mul_f64 v[142:143], v[144:145], s[14:15]
	s_delay_alu instid0(VALU_DEP_4) | instskip(NEXT) | instid1(VALU_DEP_4)
	v_add_f64 v[140:141], v[201:202], v[160:161]
	v_fma_f64 v[166:167], v[76:77], v[68:69], -v[2:3]
	v_mul_f64 v[2:3], v[76:77], v[70:71]
	v_add_f64 v[150:151], v[201:202], -v[160:161]
	v_mul_f64 v[193:194], v[144:145], s[16:17]
	v_mul_f64 v[152:153], v[144:145], s[20:21]
	;; [unrolled: 1-line block ×3, first 2 shown]
	v_fma_f64 v[168:169], v[78:79], v[68:69], v[2:3]
	s_waitcnt vmcnt(0)
	v_mul_f64 v[2:3], v[84:85], v[74:75]
	v_mul_f64 v[148:149], v[150:151], s[14:15]
	;; [unrolled: 1-line block ×5, first 2 shown]
	v_fma_f64 v[162:163], v[86:87], v[72:73], v[2:3]
	v_mul_f64 v[2:3], v[86:87], v[74:75]
	s_delay_alu instid0(VALU_DEP_2) | instskip(NEXT) | instid1(VALU_DEP_2)
	v_add_f64 v[185:186], v[168:169], -v[162:163]
	v_fma_f64 v[164:165], v[84:85], v[72:73], -v[2:3]
	s_clause 0x1
	global_load_b128 v[76:79], v[0:1], off offset:128
	global_load_b128 v[84:87], v[0:1], off offset:144
	v_add_f64 v[177:178], v[168:169], v[162:163]
	v_mul_f64 v[237:238], v[185:186], s[16:17]
	v_add_f64 v[187:188], v[166:167], -v[164:165]
	v_mul_f64 v[253:254], v[185:186], s[26:27]
	s_delay_alu instid0(VALU_DEP_2) | instskip(NEXT) | instid1(VALU_DEP_1)
	v_mul_f64 v[239:240], v[187:188], s[16:17]
	v_fma_f64 v[4:5], v[177:178], s[0:1], -v[239:240]
	s_waitcnt vmcnt(1)
	v_mul_f64 v[2:3], v[82:83], v[78:79]
	s_delay_alu instid0(VALU_DEP_1) | instskip(SKIP_1) | instid1(VALU_DEP_1)
	v_fma_f64 v[170:171], v[80:81], v[76:77], -v[2:3]
	v_mul_f64 v[2:3], v[80:81], v[78:79]
	v_fma_f64 v[172:173], v[82:83], v[76:77], v[2:3]
	s_clause 0x1
	global_load_b128 v[80:83], v[0:1], off offset:240
	global_load_b128 v[88:91], v[0:1], off offset:224
	s_waitcnt vmcnt(1)
	v_mul_f64 v[2:3], v[114:115], v[82:83]
	s_delay_alu instid0(VALU_DEP_1) | instskip(SKIP_1) | instid1(VALU_DEP_2)
	v_fma_f64 v[6:7], v[112:113], v[80:81], -v[2:3]
	v_mul_f64 v[2:3], v[112:113], v[82:83]
	v_add_f64 v[181:182], v[170:171], v[6:7]
	s_delay_alu instid0(VALU_DEP_2) | instskip(SKIP_2) | instid1(VALU_DEP_3)
	v_fma_f64 v[8:9], v[114:115], v[80:81], v[2:3]
	v_mul_f64 v[2:3], v[94:95], v[86:87]
	v_add_f64 v[207:208], v[170:171], -v[6:7]
	v_add_f64 v[189:190], v[172:173], -v[8:9]
	s_delay_alu instid0(VALU_DEP_3)
	v_fma_f64 v[14:15], v[92:93], v[84:85], -v[2:3]
	v_mul_f64 v[2:3], v[92:93], v[86:87]
	v_add_f64 v[191:192], v[172:173], v[8:9]
	v_mul_f64 v[243:244], v[207:208], s[20:21]
	v_mul_f64 v[30:31], v[207:208], s[34:35]
	;; [unrolled: 1-line block ×3, first 2 shown]
	v_fma_f64 v[16:17], v[94:95], v[84:85], v[2:3]
	s_waitcnt vmcnt(0)
	v_mul_f64 v[2:3], v[106:107], v[90:91]
	s_delay_alu instid0(VALU_DEP_1) | instskip(SKIP_1) | instid1(VALU_DEP_2)
	v_fma_f64 v[10:11], v[104:105], v[88:89], -v[2:3]
	v_mul_f64 v[2:3], v[104:105], v[90:91]
	v_add_f64 v[195:196], v[14:15], v[10:11]
	s_delay_alu instid0(VALU_DEP_2)
	v_fma_f64 v[12:13], v[106:107], v[88:89], v[2:3]
	s_clause 0x1
	global_load_b128 v[92:95], v[0:1], off offset:160
	global_load_b128 v[104:107], v[0:1], off offset:176
	v_add_f64 v[221:222], v[14:15], -v[10:11]
	v_add_f64 v[223:224], v[16:17], -v[12:13]
	v_add_f64 v[203:204], v[16:17], v[12:13]
	s_delay_alu instid0(VALU_DEP_3) | instskip(NEXT) | instid1(VALU_DEP_3)
	v_mul_f64 v[247:248], v[221:222], s[26:27]
	v_mul_f64 v[245:246], v[223:224], s[26:27]
	s_waitcnt vmcnt(1)
	v_mul_f64 v[2:3], v[98:99], v[94:95]
	s_delay_alu instid0(VALU_DEP_1) | instskip(SKIP_1) | instid1(VALU_DEP_1)
	v_fma_f64 v[18:19], v[96:97], v[92:93], -v[2:3]
	v_mul_f64 v[2:3], v[96:97], v[94:95]
	v_fma_f64 v[20:21], v[98:99], v[92:93], v[2:3]
	s_clause 0x1
	global_load_b128 v[96:99], v[0:1], off offset:208
	global_load_b128 v[112:115], v[0:1], off offset:192
	s_clause 0x5
	scratch_store_b64 off, v[6:7], off offset:180
	scratch_store_b64 off, v[8:9], off offset:188
	;; [unrolled: 1-line block ×6, first 2 shown]
	v_mul_f64 v[10:11], v[207:208], s[38:39]
	s_waitcnt vmcnt(1)
	v_mul_f64 v[0:1], v[122:123], v[98:99]
	s_delay_alu instid0(VALU_DEP_1)
	v_fma_f64 v[22:23], v[120:121], v[96:97], -v[0:1]
	v_mul_f64 v[0:1], v[120:121], v[98:99]
	s_clause 0x1
	scratch_store_b64 off, v[18:19], off offset:228
	scratch_store_b64 off, v[22:23], off offset:244
	v_add_f64 v[209:210], v[18:19], v[22:23]
	v_fma_f64 v[120:121], v[122:123], v[96:97], v[0:1]
	v_mul_f64 v[0:1], v[110:111], v[106:107]
	v_add_f64 v[231:232], v[18:19], -v[22:23]
	scratch_store_b32 off, v156, off offset:156 ; 4-byte Folded Spill
	v_add_f64 v[229:230], v[20:21], -v[120:121]
	v_fma_f64 v[122:123], v[108:109], v[104:105], -v[0:1]
	v_mul_f64 v[0:1], v[108:109], v[106:107]
	v_add_f64 v[217:218], v[20:21], v[120:121]
	v_mul_f64 v[174:175], v[231:232], s[40:41]
	v_mul_f64 v[179:180], v[231:232], s[36:37]
	;; [unrolled: 1-line block ×4, first 2 shown]
	v_fma_f64 v[110:111], v[110:111], v[104:105], v[0:1]
	s_waitcnt vmcnt(0)
	v_mul_f64 v[0:1], v[118:119], v[114:115]
	s_delay_alu instid0(VALU_DEP_1) | instskip(SKIP_1) | instid1(VALU_DEP_2)
	v_fma_f64 v[108:109], v[116:117], v[112:113], -v[0:1]
	v_mul_f64 v[0:1], v[116:117], v[114:115]
	v_add_f64 v[213:214], v[122:123], v[108:109]
	s_delay_alu instid0(VALU_DEP_2) | instskip(SKIP_3) | instid1(VALU_DEP_4)
	v_fma_f64 v[116:117], v[118:119], v[112:113], v[0:1]
	v_fma_f64 v[0:1], v[140:141], s[12:13], v[142:143]
	v_add_f64 v[118:119], v[166:167], v[164:165]
	v_add_f64 v[235:236], v[122:123], -v[108:109]
	v_add_f64 v[233:234], v[110:111], -v[116:117]
	s_delay_alu instid0(VALU_DEP_4) | instskip(NEXT) | instid1(VALU_DEP_4)
	v_add_f64 v[0:1], v[100:101], v[0:1]
	v_fma_f64 v[2:3], v[118:119], s[0:1], v[237:238]
	v_add_f64 v[225:226], v[110:111], v[116:117]
	v_mul_f64 v[183:184], v[235:236], s[30:31]
	v_mul_f64 v[8:9], v[235:236], s[34:35]
	;; [unrolled: 1-line block ×3, first 2 shown]
	v_add_f64 v[0:1], v[2:3], v[0:1]
	v_fma_f64 v[2:3], v[146:147], s[12:13], -v[148:149]
	s_delay_alu instid0(VALU_DEP_1) | instskip(NEXT) | instid1(VALU_DEP_1)
	v_add_f64 v[2:3], v[102:103], v[2:3]
	v_add_f64 v[2:3], v[4:5], v[2:3]
	v_fma_f64 v[4:5], v[181:182], s[18:19], v[241:242]
	s_delay_alu instid0(VALU_DEP_1) | instskip(SKIP_1) | instid1(VALU_DEP_1)
	v_add_f64 v[0:1], v[4:5], v[0:1]
	v_fma_f64 v[4:5], v[191:192], s[18:19], -v[243:244]
	v_add_f64 v[2:3], v[4:5], v[2:3]
	v_fma_f64 v[4:5], v[195:196], s[22:23], v[245:246]
	s_delay_alu instid0(VALU_DEP_1) | instskip(SKIP_1) | instid1(VALU_DEP_1)
	v_add_f64 v[0:1], v[4:5], v[0:1]
	v_fma_f64 v[4:5], v[203:204], s[22:23], -v[247:248]
	;; [unrolled: 5-line block ×3, first 2 shown]
	v_add_f64 v[2:3], v[4:5], v[2:3]
	v_fma_f64 v[4:5], v[213:214], s[28:29], v[251:252]
	s_delay_alu instid0(VALU_DEP_1) | instskip(SKIP_2) | instid1(VALU_DEP_2)
	v_add_f64 v[124:125], v[4:5], v[0:1]
	v_fma_f64 v[0:1], v[225:226], s[28:29], -v[183:184]
	v_mul_f64 v[4:5], v[187:188], s[26:27]
	v_add_f64 v[126:127], v[0:1], v[2:3]
	v_fma_f64 v[0:1], v[140:141], s[0:1], v[193:194]
	v_fma_f64 v[2:3], v[118:119], s[22:23], v[253:254]
	scratch_store_b64 off, v[4:5], off offset:268 ; 8-byte Folded Spill
	v_fma_f64 v[4:5], v[177:178], s[22:23], -v[4:5]
	v_add_f64 v[0:1], v[100:101], v[0:1]
	s_delay_alu instid0(VALU_DEP_1) | instskip(SKIP_1) | instid1(VALU_DEP_1)
	v_add_f64 v[0:1], v[2:3], v[0:1]
	v_fma_f64 v[2:3], v[146:147], s[0:1], -v[197:198]
	v_add_f64 v[2:3], v[102:103], v[2:3]
	s_delay_alu instid0(VALU_DEP_1)
	v_add_f64 v[2:3], v[4:5], v[2:3]
	v_mul_f64 v[4:5], v[189:190], s[30:31]
	s_clause 0x1
	scratch_store_b64 off, v[20:21], off offset:236
	scratch_store_b64 off, v[4:5], off offset:252
	v_fma_f64 v[4:5], v[181:182], s[28:29], v[4:5]
	s_delay_alu instid0(VALU_DEP_1) | instskip(SKIP_3) | instid1(VALU_DEP_1)
	v_add_f64 v[0:1], v[4:5], v[0:1]
	v_mul_f64 v[4:5], v[207:208], s[30:31]
	scratch_store_b64 off, v[4:5], off offset:276 ; 8-byte Folded Spill
	v_fma_f64 v[4:5], v[191:192], s[28:29], -v[4:5]
	v_add_f64 v[2:3], v[4:5], v[2:3]
	v_mul_f64 v[4:5], v[223:224], s[46:47]
	scratch_store_b64 off, v[4:5], off offset:260 ; 8-byte Folded Spill
	v_fma_f64 v[4:5], v[195:196], s[24:25], v[4:5]
	s_delay_alu instid0(VALU_DEP_1) | instskip(SKIP_3) | instid1(VALU_DEP_1)
	v_add_f64 v[0:1], v[4:5], v[0:1]
	v_mul_f64 v[4:5], v[221:222], s[46:47]
	scratch_store_b64 off, v[4:5], off offset:300 ; 8-byte Folded Spill
	v_fma_f64 v[4:5], v[203:204], s[24:25], -v[4:5]
	v_add_f64 v[2:3], v[4:5], v[2:3]
	v_mul_f64 v[4:5], v[229:230], s[36:37]
	scratch_store_b64 off, v[4:5], off offset:284 ; 8-byte Folded Spill
	v_fma_f64 v[4:5], v[209:210], s[18:19], v[4:5]
	s_delay_alu instid0(VALU_DEP_1) | instskip(SKIP_1) | instid1(VALU_DEP_1)
	v_add_f64 v[0:1], v[4:5], v[0:1]
	v_fma_f64 v[4:5], v[217:218], s[18:19], -v[179:180]
	v_add_f64 v[2:3], v[4:5], v[2:3]
	v_mul_f64 v[4:5], v[233:234], s[34:35]
	scratch_store_b64 off, v[4:5], off offset:308 ; 8-byte Folded Spill
	v_fma_f64 v[4:5], v[213:214], s[12:13], v[4:5]
	s_delay_alu instid0(VALU_DEP_1) | instskip(SKIP_2) | instid1(VALU_DEP_2)
	v_add_f64 v[128:129], v[4:5], v[0:1]
	v_fma_f64 v[0:1], v[225:226], s[12:13], -v[8:9]
	v_mul_f64 v[4:5], v[187:188], s[30:31]
	v_add_f64 v[130:131], v[0:1], v[2:3]
	v_fma_f64 v[0:1], v[140:141], s[18:19], v[152:153]
	v_mul_f64 v[2:3], v[185:186], s[30:31]
	scratch_store_b64 off, v[4:5], off offset:332 ; 8-byte Folded Spill
	v_fma_f64 v[4:5], v[177:178], s[28:29], -v[4:5]
	v_add_f64 v[0:1], v[100:101], v[0:1]
	scratch_store_b64 off, v[2:3], off offset:292 ; 8-byte Folded Spill
	v_fma_f64 v[2:3], v[118:119], s[28:29], v[2:3]
	s_delay_alu instid0(VALU_DEP_1) | instskip(SKIP_1) | instid1(VALU_DEP_1)
	v_add_f64 v[2:3], v[2:3], v[0:1]
	v_fma_f64 v[0:1], v[146:147], s[18:19], -v[154:155]
	v_add_f64 v[0:1], v[102:103], v[0:1]
	s_delay_alu instid0(VALU_DEP_1) | instskip(SKIP_1) | instid1(VALU_DEP_1)
	v_add_f64 v[4:5], v[4:5], v[0:1]
	v_mul_f64 v[0:1], v[189:190], s[38:39]
	v_fma_f64 v[6:7], v[181:182], s[22:23], v[0:1]
	s_delay_alu instid0(VALU_DEP_1) | instskip(SKIP_1) | instid1(VALU_DEP_1)
	v_add_f64 v[2:3], v[6:7], v[2:3]
	v_fma_f64 v[6:7], v[191:192], s[22:23], -v[10:11]
	v_add_f64 v[6:7], v[6:7], v[4:5]
	v_mul_f64 v[4:5], v[223:224], s[34:35]
	s_delay_alu instid0(VALU_DEP_1) | instskip(NEXT) | instid1(VALU_DEP_1)
	v_fma_f64 v[12:13], v[195:196], s[12:13], v[4:5]
	v_add_f64 v[2:3], v[12:13], v[2:3]
	v_mul_f64 v[12:13], v[221:222], s[34:35]
	s_delay_alu instid0(VALU_DEP_1) | instskip(NEXT) | instid1(VALU_DEP_1)
	v_fma_f64 v[14:15], v[203:204], s[12:13], -v[12:13]
	v_add_f64 v[14:15], v[14:15], v[6:7]
	v_mul_f64 v[6:7], v[229:230], s[16:17]
	s_delay_alu instid0(VALU_DEP_1) | instskip(NEXT) | instid1(VALU_DEP_1)
	v_fma_f64 v[16:17], v[209:210], s[0:1], v[6:7]
	v_add_f64 v[16:17], v[16:17], v[2:3]
	v_fma_f64 v[2:3], v[217:218], s[0:1], -v[22:23]
	s_delay_alu instid0(VALU_DEP_1) | instskip(SKIP_1) | instid1(VALU_DEP_1)
	v_add_f64 v[14:15], v[2:3], v[14:15]
	v_mul_f64 v[2:3], v[233:234], s[40:41]
	v_fma_f64 v[18:19], v[213:214], s[24:25], v[2:3]
	s_delay_alu instid0(VALU_DEP_1)
	v_add_f64 v[132:133], v[18:19], v[16:17]
	v_mul_f64 v[16:17], v[185:186], s[46:47]
	scratch_store_b64 off, v[2:3], off offset:324 ; 8-byte Folded Spill
	v_mul_f64 v[2:3], v[235:236], s[40:41]
	scratch_store_b64 off, v[16:17], off offset:316 ; 8-byte Folded Spill
	s_waitcnt_vscnt null, 0x0
	v_fma_f64 v[18:19], v[225:226], s[24:25], -v[2:3]
	s_barrier
	buffer_gl0_inv
	v_add_f64 v[134:135], v[18:19], v[14:15]
	v_fma_f64 v[14:15], v[140:141], s[22:23], v[205:206]
	v_fma_f64 v[18:19], v[118:119], s[24:25], v[16:17]
	v_mul_f64 v[16:17], v[223:224], s[20:21]
	s_delay_alu instid0(VALU_DEP_3) | instskip(NEXT) | instid1(VALU_DEP_2)
	v_add_f64 v[14:15], v[100:101], v[14:15]
	v_fma_f64 v[28:29], v[195:196], s[18:19], v[16:17]
	s_delay_alu instid0(VALU_DEP_2) | instskip(SKIP_1) | instid1(VALU_DEP_1)
	v_add_f64 v[20:21], v[18:19], v[14:15]
	v_fma_f64 v[14:15], v[146:147], s[22:23], -v[211:212]
	v_add_f64 v[18:19], v[102:103], v[14:15]
	v_mul_f64 v[14:15], v[187:188], s[46:47]
	s_delay_alu instid0(VALU_DEP_1) | instskip(NEXT) | instid1(VALU_DEP_1)
	v_fma_f64 v[24:25], v[177:178], s[24:25], -v[14:15]
	v_add_f64 v[24:25], v[24:25], v[18:19]
	v_mul_f64 v[18:19], v[189:190], s[34:35]
	s_delay_alu instid0(VALU_DEP_1) | instskip(NEXT) | instid1(VALU_DEP_1)
	v_fma_f64 v[26:27], v[181:182], s[12:13], v[18:19]
	v_add_f64 v[26:27], v[26:27], v[20:21]
	v_fma_f64 v[20:21], v[191:192], s[12:13], -v[30:31]
	s_delay_alu instid0(VALU_DEP_2) | instskip(SKIP_1) | instid1(VALU_DEP_3)
	v_add_f64 v[26:27], v[28:29], v[26:27]
	v_mul_f64 v[28:29], v[221:222], s[20:21]
	v_add_f64 v[24:25], v[20:21], v[24:25]
	v_mul_f64 v[20:21], v[235:236], s[42:43]
	s_delay_alu instid0(VALU_DEP_3) | instskip(NEXT) | instid1(VALU_DEP_2)
	v_fma_f64 v[32:33], v[203:204], s[18:19], -v[28:29]
	v_fma_f64 v[219:220], v[225:226], s[0:1], -v[20:21]
	s_delay_alu instid0(VALU_DEP_2) | instskip(SKIP_1) | instid1(VALU_DEP_1)
	v_add_f64 v[34:35], v[32:33], v[24:25]
	v_mul_f64 v[24:25], v[229:230], s[44:45]
	v_fma_f64 v[32:33], v[209:210], s[28:29], v[24:25]
	s_delay_alu instid0(VALU_DEP_1) | instskip(SKIP_1) | instid1(VALU_DEP_1)
	v_add_f64 v[136:137], v[32:33], v[26:27]
	v_mul_f64 v[32:33], v[231:232], s[44:45]
	v_fma_f64 v[26:27], v[217:218], s[28:29], -v[32:33]
	s_delay_alu instid0(VALU_DEP_1) | instskip(SKIP_1) | instid1(VALU_DEP_2)
	v_add_f64 v[138:139], v[26:27], v[34:35]
	v_mul_f64 v[26:27], v[233:234], s[42:43]
	v_add_f64 v[138:139], v[219:220], v[138:139]
	s_delay_alu instid0(VALU_DEP_2) | instskip(NEXT) | instid1(VALU_DEP_1)
	v_fma_f64 v[34:35], v[213:214], s[0:1], v[26:27]
	v_add_f64 v[136:137], v[34:35], v[136:137]
	s_and_saveexec_b32 s33, vcc_lo
	s_cbranch_execz .LBB0_5
; %bb.4:
	v_mul_f64 v[219:220], v[146:147], s[28:29]
	v_mov_b32_e32 v216, v157
	v_mul_f64 v[156:157], v[146:147], s[24:25]
	s_clause 0x2
	scratch_store_b32 off, v227, off offset:340
	scratch_store_b32 off, v228, off offset:344
	scratch_store_b64 off, v[158:159], off offset:348
	v_add_f64 v[34:35], v[102:103], v[199:200]
	scratch_store_b64 off, v[160:161], off offset:356 ; 8-byte Folded Spill
	v_fma_f64 v[227:228], v[150:151], s[44:45], v[219:220]
	v_fma_f64 v[219:220], v[150:151], s[30:31], v[219:220]
	;; [unrolled: 1-line block ×4, first 2 shown]
	v_mul_f64 v[156:157], v[146:147], s[22:23]
	scratch_store_b64 off, v[34:35], off offset:364 ; 8-byte Folded Spill
	v_add_f64 v[34:35], v[100:101], v[201:202]
	v_add_f64 v[219:220], v[102:103], v[219:220]
	;; [unrolled: 1-line block ×3, first 2 shown]
	v_mul_f64 v[211:212], v[140:141], s[22:23]
	scratch_store_b64 off, v[34:35], off offset:372 ; 8-byte Folded Spill
	v_add_f64 v[34:35], v[102:103], v[158:159]
	v_add_f64 v[156:157], v[102:103], v[156:157]
	v_add_f64 v[205:206], v[211:212], -v[205:206]
	v_mul_f64 v[211:212], v[146:147], s[18:19]
	scratch_store_b64 off, v[34:35], off offset:404 ; 8-byte Folded Spill
	v_add_f64 v[205:206], v[100:101], v[205:206]
	v_add_f64 v[154:155], v[154:155], v[211:212]
	v_mul_f64 v[211:212], v[140:141], s[18:19]
	s_delay_alu instid0(VALU_DEP_2) | instskip(NEXT) | instid1(VALU_DEP_2)
	v_add_f64 v[154:155], v[102:103], v[154:155]
	v_add_f64 v[152:153], v[211:212], -v[152:153]
	v_mul_f64 v[211:212], v[146:147], s[0:1]
	v_mul_f64 v[146:147], v[146:147], s[12:13]
	s_delay_alu instid0(VALU_DEP_3) | instskip(NEXT) | instid1(VALU_DEP_3)
	v_add_f64 v[152:153], v[100:101], v[152:153]
	v_add_f64 v[197:198], v[197:198], v[211:212]
	s_delay_alu instid0(VALU_DEP_3) | instskip(SKIP_3) | instid1(VALU_DEP_2)
	v_add_f64 v[146:147], v[148:149], v[146:147]
	v_mul_f64 v[148:149], v[144:145], s[30:31]
	v_mul_f64 v[144:145], v[144:145], s[40:41]
	;; [unrolled: 1-line block ×3, first 2 shown]
	v_fma_f64 v[160:161], v[140:141], s[24:25], v[144:145]
	v_fma_f64 v[144:145], v[140:141], s[24:25], -v[144:145]
	s_delay_alu instid0(VALU_DEP_3)
	v_add_f64 v[193:194], v[211:212], -v[193:194]
	v_fma_f64 v[211:212], v[140:141], s[28:29], v[148:149]
	v_fma_f64 v[148:149], v[140:141], s[28:29], -v[148:149]
	v_mul_f64 v[140:141], v[140:141], s[12:13]
	v_add_f64 v[34:35], v[100:101], v[160:161]
	v_add_f64 v[193:194], v[100:101], v[193:194]
	;; [unrolled: 1-line block ×4, first 2 shown]
	v_add_f64 v[140:141], v[140:141], -v[142:143]
	v_add_f64 v[142:143], v[102:103], v[227:228]
	v_add_f64 v[227:228], v[102:103], v[150:151]
	v_dual_mov_b32 v150, v162 :: v_dual_mov_b32 v151, v163
	v_mul_f64 v[162:163], v[225:226], s[18:19]
	scratch_store_b64 off, v[34:35], off offset:396 ; 8-byte Folded Spill
	v_add_f64 v[34:35], v[100:101], v[144:145]
	v_add_f64 v[144:145], v[102:103], v[197:198]
	scratch_store_b64 off, v[34:35], off offset:412 ; 8-byte Folded Spill
	v_add_f64 v[34:35], v[102:103], v[146:147]
	v_mul_f64 v[146:147], v[191:192], s[24:25]
	scratch_store_b64 off, v[34:35], off offset:380 ; 8-byte Folded Spill
	v_add_f64 v[34:35], v[100:101], v[140:141]
	v_mul_f64 v[140:141], v[177:178], s[12:13]
	scratch_store_b64 off, v[34:35], off offset:388 ; 8-byte Folded Spill
	v_fma_f64 v[100:101], v[187:188], s[14:15], v[140:141]
	v_fma_f64 v[140:141], v[187:188], s[34:35], v[140:141]
	v_dual_mov_b32 v34, v164 :: v_dual_mov_b32 v35, v165
	v_mul_f64 v[164:165], v[233:234], s[36:37]
	s_delay_alu instid0(VALU_DEP_4) | instskip(SKIP_2) | instid1(VALU_DEP_2)
	v_add_f64 v[100:101], v[100:101], v[142:143]
	v_mul_f64 v[142:143], v[185:186], s[34:35]
	v_add_f64 v[140:141], v[140:141], v[219:220]
	v_fma_f64 v[102:103], v[118:119], s[12:13], v[142:143]
	v_fma_f64 v[142:143], v[118:119], s[12:13], -v[142:143]
	s_delay_alu instid0(VALU_DEP_2) | instskip(SKIP_2) | instid1(VALU_DEP_4)
	v_add_f64 v[102:103], v[102:103], v[211:212]
	v_fma_f64 v[211:212], v[207:208], s[46:47], v[146:147]
	v_fma_f64 v[146:147], v[207:208], s[40:41], v[146:147]
	v_add_f64 v[142:143], v[142:143], v[148:149]
	v_fma_f64 v[148:149], v[213:214], s[18:19], -v[164:165]
	s_delay_alu instid0(VALU_DEP_4) | instskip(SKIP_2) | instid1(VALU_DEP_2)
	v_add_f64 v[100:101], v[211:212], v[100:101]
	v_mul_f64 v[211:212], v[189:190], s[40:41]
	v_add_f64 v[140:141], v[146:147], v[140:141]
	v_fma_f64 v[201:202], v[181:182], s[24:25], v[211:212]
	v_fma_f64 v[146:147], v[181:182], s[24:25], -v[211:212]
	s_delay_alu instid0(VALU_DEP_2) | instskip(SKIP_1) | instid1(VALU_DEP_3)
	v_add_f64 v[102:103], v[201:202], v[102:103]
	v_mul_f64 v[201:202], v[203:204], s[0:1]
	v_add_f64 v[142:143], v[146:147], v[142:143]
	s_delay_alu instid0(VALU_DEP_2) | instskip(SKIP_1) | instid1(VALU_DEP_2)
	v_fma_f64 v[197:198], v[221:222], s[16:17], v[201:202]
	v_fma_f64 v[146:147], v[221:222], s[42:43], v[201:202]
	v_add_f64 v[100:101], v[197:198], v[100:101]
	v_mul_f64 v[197:198], v[223:224], s[42:43]
	s_delay_alu instid0(VALU_DEP_3) | instskip(NEXT) | instid1(VALU_DEP_2)
	v_add_f64 v[140:141], v[146:147], v[140:141]
	v_fma_f64 v[199:200], v[195:196], s[0:1], v[197:198]
	v_fma_f64 v[146:147], v[195:196], s[0:1], -v[197:198]
	s_delay_alu instid0(VALU_DEP_2) | instskip(SKIP_1) | instid1(VALU_DEP_3)
	v_add_f64 v[102:103], v[199:200], v[102:103]
	v_mul_f64 v[199:200], v[217:218], s[22:23]
	v_add_f64 v[142:143], v[146:147], v[142:143]
	s_delay_alu instid0(VALU_DEP_2) | instskip(SKIP_1) | instid1(VALU_DEP_2)
	v_fma_f64 v[160:161], v[231:232], s[38:39], v[199:200]
	v_fma_f64 v[146:147], v[231:232], s[26:27], v[199:200]
	v_add_f64 v[100:101], v[160:161], v[100:101]
	v_mul_f64 v[160:161], v[229:230], s[26:27]
	s_delay_alu instid0(VALU_DEP_3) | instskip(NEXT) | instid1(VALU_DEP_2)
	v_add_f64 v[140:141], v[146:147], v[140:141]
	v_fma_f64 v[146:147], v[209:210], s[22:23], -v[160:161]
	v_fma_f64 v[158:159], v[209:210], s[22:23], v[160:161]
	s_clause 0x1
	scratch_load_b64 v[160:161], off, off offset:276
	scratch_load_b64 v[197:198], off, off offset:260
	v_add_f64 v[146:147], v[146:147], v[142:143]
	v_fma_f64 v[142:143], v[235:236], s[36:37], v[162:163]
	v_add_f64 v[158:159], v[158:159], v[102:103]
	v_fma_f64 v[102:103], v[235:236], s[20:21], v[162:163]
	scratch_load_b64 v[162:163], off, off offset:252 ; 8-byte Folded Reload
	v_add_f64 v[142:143], v[142:143], v[140:141]
	v_add_f64 v[140:141], v[148:149], v[146:147]
	scratch_load_b64 v[148:149], off, off offset:268 ; 8-byte Folded Reload
	v_add_f64 v[102:103], v[102:103], v[100:101]
	v_fma_f64 v[100:101], v[213:214], s[18:19], v[164:165]
	v_mul_f64 v[146:147], v[177:178], s[22:23]
	scratch_load_b64 v[164:165], off, off offset:300 ; 8-byte Folded Reload
	v_add_f64 v[100:101], v[100:101], v[158:159]
	v_mul_f64 v[158:159], v[191:192], s[28:29]
	s_waitcnt vmcnt(4)
	s_delay_alu instid0(VALU_DEP_1) | instskip(SKIP_2) | instid1(VALU_DEP_1)
	v_add_f64 v[158:159], v[160:161], v[158:159]
	v_mul_f64 v[160:161], v[181:182], s[28:29]
	s_waitcnt vmcnt(2)
	v_add_f64 v[160:161], v[160:161], -v[162:163]
	v_mul_f64 v[162:163], v[203:204], s[24:25]
	s_waitcnt vmcnt(1)
	v_add_f64 v[146:147], v[148:149], v[146:147]
	v_mul_f64 v[148:149], v[118:119], s[22:23]
	s_delay_alu instid0(VALU_DEP_2) | instskip(NEXT) | instid1(VALU_DEP_2)
	v_add_f64 v[144:145], v[146:147], v[144:145]
	v_add_f64 v[148:149], v[148:149], -v[253:254]
	s_delay_alu instid0(VALU_DEP_2) | instskip(NEXT) | instid1(VALU_DEP_2)
	v_add_f64 v[144:145], v[158:159], v[144:145]
	v_add_f64 v[146:147], v[148:149], v[193:194]
	v_mul_f64 v[148:149], v[209:210], s[18:19]
	v_mul_f64 v[158:159], v[225:226], s[12:13]
	s_delay_alu instid0(VALU_DEP_3)
	v_add_f64 v[146:147], v[160:161], v[146:147]
	s_clause 0x1
	scratch_load_b64 v[160:161], off, off offset:308
	scratch_load_b64 v[193:194], off, off offset:284
	s_waitcnt vmcnt(2)
	v_add_f64 v[162:163], v[164:165], v[162:163]
	v_mul_f64 v[164:165], v[195:196], s[24:25]
	v_add_f64 v[8:9], v[8:9], v[158:159]
	v_mul_f64 v[158:159], v[213:214], s[12:13]
	s_delay_alu instid0(VALU_DEP_4) | instskip(NEXT) | instid1(VALU_DEP_4)
	v_add_f64 v[144:145], v[162:163], v[144:145]
	v_add_f64 v[164:165], v[164:165], -v[197:198]
	v_mul_f64 v[197:198], v[217:218], s[18:19]
	s_delay_alu instid0(VALU_DEP_2) | instskip(NEXT) | instid1(VALU_DEP_2)
	v_add_f64 v[146:147], v[164:165], v[146:147]
	v_add_f64 v[179:180], v[179:180], v[197:198]
	s_delay_alu instid0(VALU_DEP_1) | instskip(SKIP_4) | instid1(VALU_DEP_1)
	v_add_f64 v[144:145], v[179:180], v[144:145]
	s_waitcnt vmcnt(1)
	v_add_f64 v[158:159], v[158:159], -v[160:161]
	s_waitcnt vmcnt(0)
	v_add_f64 v[148:149], v[148:149], -v[193:194]
	v_add_f64 v[148:149], v[148:149], v[146:147]
	s_delay_alu instid0(VALU_DEP_4) | instskip(SKIP_1) | instid1(VALU_DEP_3)
	v_add_f64 v[146:147], v[8:9], v[144:145]
	v_mul_f64 v[8:9], v[177:178], s[28:29]
	v_add_f64 v[144:145], v[158:159], v[148:149]
	s_clause 0x1
	scratch_load_b64 v[148:149], off, off offset:332
	scratch_load_b64 v[158:159], off, off offset:292
	s_waitcnt vmcnt(1)
	v_add_f64 v[8:9], v[148:149], v[8:9]
	v_mul_f64 v[148:149], v[118:119], s[28:29]
	s_delay_alu instid0(VALU_DEP_2) | instskip(SKIP_1) | instid1(VALU_DEP_2)
	v_add_f64 v[8:9], v[8:9], v[154:155]
	s_waitcnt vmcnt(0)
	v_add_f64 v[148:149], v[148:149], -v[158:159]
	v_mul_f64 v[158:159], v[191:192], s[22:23]
	s_delay_alu instid0(VALU_DEP_2) | instskip(NEXT) | instid1(VALU_DEP_2)
	v_add_f64 v[148:149], v[148:149], v[152:153]
	v_add_f64 v[10:11], v[10:11], v[158:159]
	v_mul_f64 v[158:159], v[181:182], s[22:23]
	v_mul_f64 v[152:153], v[209:210], s[0:1]
	s_delay_alu instid0(VALU_DEP_3) | instskip(SKIP_1) | instid1(VALU_DEP_4)
	v_add_f64 v[8:9], v[10:11], v[8:9]
	v_mul_f64 v[10:11], v[225:226], s[24:25]
	v_add_f64 v[0:1], v[158:159], -v[0:1]
	v_mul_f64 v[158:159], v[203:204], s[12:13]
	v_add_f64 v[6:7], v[152:153], -v[6:7]
	s_delay_alu instid0(VALU_DEP_4) | instskip(SKIP_4) | instid1(VALU_DEP_3)
	v_add_f64 v[10:11], v[2:3], v[10:11]
	scratch_load_b64 v[2:3], off, off offset:324 ; 8-byte Folded Reload
	v_add_f64 v[12:13], v[12:13], v[158:159]
	v_mul_f64 v[158:159], v[195:196], s[12:13]
	v_add_f64 v[0:1], v[0:1], v[148:149]
	v_add_f64 v[8:9], v[12:13], v[8:9]
	scratch_load_b64 v[12:13], off, off offset:316 ; 8-byte Folded Reload
	v_add_f64 v[4:5], v[158:159], -v[4:5]
	v_mul_f64 v[158:159], v[217:218], s[0:1]
	s_delay_alu instid0(VALU_DEP_2) | instskip(NEXT) | instid1(VALU_DEP_2)
	v_add_f64 v[0:1], v[4:5], v[0:1]
	v_add_f64 v[22:23], v[22:23], v[158:159]
	v_mul_f64 v[4:5], v[213:214], s[24:25]
	s_delay_alu instid0(VALU_DEP_3) | instskip(SKIP_1) | instid1(VALU_DEP_1)
	v_add_f64 v[0:1], v[6:7], v[0:1]
	v_mul_f64 v[6:7], v[177:178], s[24:25]
	v_add_f64 v[6:7], v[14:15], v[6:7]
	v_mul_f64 v[14:15], v[195:196], s[18:19]
	s_delay_alu instid0(VALU_DEP_2) | instskip(NEXT) | instid1(VALU_DEP_2)
	v_add_f64 v[6:7], v[6:7], v[156:157]
	v_add_f64 v[14:15], v[14:15], -v[16:17]
	v_mul_f64 v[16:17], v[217:218], s[28:29]
	v_mov_b32_e32 v157, v216
	s_delay_alu instid0(VALU_DEP_2)
	v_add_f64 v[16:17], v[32:33], v[16:17]
	v_mul_f64 v[32:33], v[225:226], s[22:23]
	s_waitcnt vmcnt(1)
	v_add_f64 v[4:5], v[4:5], -v[2:3]
	v_add_f64 v[2:3], v[22:23], v[8:9]
	v_mul_f64 v[8:9], v[181:182], s[12:13]
	s_delay_alu instid0(VALU_DEP_3) | instskip(NEXT) | instid1(VALU_DEP_3)
	v_add_f64 v[0:1], v[4:5], v[0:1]
	v_add_f64 v[2:3], v[10:11], v[2:3]
	v_mul_f64 v[4:5], v[191:192], s[12:13]
	v_mul_f64 v[10:11], v[118:119], s[24:25]
	v_add_f64 v[8:9], v[8:9], -v[18:19]
	v_mul_f64 v[18:19], v[209:210], s[28:29]
	s_delay_alu instid0(VALU_DEP_4) | instskip(SKIP_1) | instid1(VALU_DEP_4)
	v_add_f64 v[4:5], v[30:31], v[4:5]
	s_waitcnt vmcnt(0)
	v_add_f64 v[10:11], v[10:11], -v[12:13]
	v_mul_f64 v[12:13], v[203:204], s[18:19]
	s_delay_alu instid0(VALU_DEP_4) | instskip(SKIP_4) | instid1(VALU_DEP_2)
	v_add_f64 v[18:19], v[18:19], -v[24:25]
	v_mul_f64 v[30:31], v[233:234], s[26:27]
	v_add_f64 v[4:5], v[4:5], v[6:7]
	v_add_f64 v[10:11], v[10:11], v[205:206]
	;; [unrolled: 1-line block ×4, first 2 shown]
	s_delay_alu instid0(VALU_DEP_2) | instskip(SKIP_2) | instid1(VALU_DEP_4)
	v_add_f64 v[4:5], v[12:13], v[4:5]
	v_mul_f64 v[8:9], v[225:226], s[0:1]
	v_mul_f64 v[10:11], v[213:214], s[0:1]
	v_add_f64 v[6:7], v[14:15], v[6:7]
	s_delay_alu instid0(VALU_DEP_4)
	v_add_f64 v[4:5], v[16:17], v[4:5]
	scratch_load_b64 v[16:17], off, off offset:412 ; 8-byte Folded Reload
	v_add_f64 v[8:9], v[20:21], v[8:9]
	v_add_f64 v[10:11], v[10:11], -v[26:27]
	v_mul_f64 v[14:15], v[185:186], s[36:37]
	v_add_f64 v[12:13], v[18:19], v[6:7]
	s_delay_alu instid0(VALU_DEP_4) | instskip(NEXT) | instid1(VALU_DEP_2)
	v_add_f64 v[6:7], v[8:9], v[4:5]
	v_add_f64 v[4:5], v[10:11], v[12:13]
	v_mul_f64 v[12:13], v[177:178], s[18:19]
	v_fma_f64 v[10:11], v[118:119], s[18:19], -v[14:15]
	v_fma_f64 v[14:15], v[118:119], s[18:19], v[14:15]
	s_delay_alu instid0(VALU_DEP_3) | instskip(SKIP_1) | instid1(VALU_DEP_2)
	v_fma_f64 v[8:9], v[187:188], s[36:37], v[12:13]
	v_fma_f64 v[12:13], v[187:188], s[20:21], v[12:13]
	v_add_f64 v[8:9], v[8:9], v[227:228]
	s_clause 0x1
	scratch_load_b32 v228, off, off offset:344
	scratch_load_b32 v227, off, off offset:340
	s_waitcnt vmcnt(2)
	v_add_f64 v[10:11], v[10:11], v[16:17]
	v_mul_f64 v[16:17], v[191:192], s[0:1]
	s_delay_alu instid0(VALU_DEP_1) | instskip(SKIP_1) | instid1(VALU_DEP_2)
	v_fma_f64 v[18:19], v[207:208], s[16:17], v[16:17]
	v_fma_f64 v[16:17], v[207:208], s[42:43], v[16:17]
	v_add_f64 v[8:9], v[18:19], v[8:9]
	v_mul_f64 v[18:19], v[189:190], s[16:17]
	s_delay_alu instid0(VALU_DEP_1) | instskip(NEXT) | instid1(VALU_DEP_1)
	v_fma_f64 v[20:21], v[181:182], s[0:1], -v[18:19]
	v_add_f64 v[10:11], v[20:21], v[10:11]
	v_mul_f64 v[20:21], v[203:204], s[28:29]
	s_delay_alu instid0(VALU_DEP_1) | instskip(SKIP_1) | instid1(VALU_DEP_2)
	v_fma_f64 v[22:23], v[221:222], s[44:45], v[20:21]
	v_fma_f64 v[20:21], v[221:222], s[30:31], v[20:21]
	v_add_f64 v[8:9], v[22:23], v[8:9]
	v_mul_f64 v[22:23], v[223:224], s[44:45]
	s_delay_alu instid0(VALU_DEP_1) | instskip(NEXT) | instid1(VALU_DEP_1)
	v_fma_f64 v[24:25], v[195:196], s[28:29], -v[22:23]
	;; [unrolled: 9-line block ×3, first 2 shown]
	v_add_f64 v[28:29], v[28:29], v[10:11]
	v_fma_f64 v[10:11], v[235:236], s[26:27], v[32:33]
	s_delay_alu instid0(VALU_DEP_1) | instskip(SKIP_1) | instid1(VALU_DEP_1)
	v_add_f64 v[10:11], v[10:11], v[8:9]
	v_fma_f64 v[8:9], v[213:214], s[22:23], -v[30:31]
	v_add_f64 v[8:9], v[8:9], v[28:29]
	v_fma_f64 v[28:29], v[235:236], s[38:39], v[32:33]
	scratch_load_b64 v[32:33], off, off offset:404 ; 8-byte Folded Reload
	s_waitcnt vmcnt(0)
	v_add_f64 v[12:13], v[12:13], v[32:33]
	scratch_load_b64 v[32:33], off, off offset:396 ; 8-byte Folded Reload
	v_add_f64 v[12:13], v[16:17], v[12:13]
	v_fma_f64 v[16:17], v[181:182], s[0:1], v[18:19]
	v_fma_f64 v[18:19], v[213:214], s[22:23], v[30:31]
	scratch_load_b64 v[30:31], off, off offset:380 ; 8-byte Folded Reload
	v_add_f64 v[12:13], v[20:21], v[12:13]
	v_mul_f64 v[20:21], v[191:192], s[18:19]
	s_delay_alu instid0(VALU_DEP_2) | instskip(NEXT) | instid1(VALU_DEP_2)
	v_add_f64 v[12:13], v[24:25], v[12:13]
	v_add_f64 v[20:21], v[243:244], v[20:21]
	v_mul_f64 v[24:25], v[203:204], s[22:23]
	s_delay_alu instid0(VALU_DEP_1) | instskip(SKIP_2) | instid1(VALU_DEP_1)
	v_add_f64 v[24:25], v[247:248], v[24:25]
	s_waitcnt vmcnt(1)
	v_add_f64 v[14:15], v[14:15], v[32:33]
	v_add_f64 v[14:15], v[16:17], v[14:15]
	v_fma_f64 v[16:17], v[195:196], s[28:29], v[22:23]
	v_mul_f64 v[22:23], v[181:182], s[18:19]
	s_delay_alu instid0(VALU_DEP_2) | instskip(SKIP_1) | instid1(VALU_DEP_3)
	v_add_f64 v[14:15], v[16:17], v[14:15]
	v_fma_f64 v[16:17], v[209:210], s[12:13], v[26:27]
	v_add_f64 v[22:23], v[22:23], -v[241:242]
	v_mul_f64 v[26:27], v[195:196], s[22:23]
	s_delay_alu instid0(VALU_DEP_3) | instskip(SKIP_2) | instid1(VALU_DEP_4)
	v_add_f64 v[16:17], v[16:17], v[14:15]
	v_add_f64 v[14:15], v[28:29], v[12:13]
	v_mul_f64 v[28:29], v[217:218], s[24:25]
	v_add_f64 v[26:27], v[26:27], -v[245:246]
	s_delay_alu instid0(VALU_DEP_4) | instskip(SKIP_3) | instid1(VALU_DEP_3)
	v_add_f64 v[12:13], v[18:19], v[16:17]
	v_mul_f64 v[16:17], v[177:178], s[0:1]
	v_mul_f64 v[18:19], v[118:119], s[0:1]
	v_add_f64 v[28:29], v[174:175], v[28:29]
	v_add_f64 v[16:17], v[239:240], v[16:17]
	s_delay_alu instid0(VALU_DEP_3) | instskip(SKIP_1) | instid1(VALU_DEP_2)
	v_add_f64 v[18:19], v[18:19], -v[237:238]
	s_waitcnt vmcnt(0)
	v_add_f64 v[16:17], v[16:17], v[30:31]
	scratch_load_b64 v[30:31], off, off offset:388 ; 8-byte Folded Reload
	v_add_f64 v[16:17], v[20:21], v[16:17]
	v_mul_f64 v[20:21], v[225:226], s[28:29]
	s_delay_alu instid0(VALU_DEP_2) | instskip(NEXT) | instid1(VALU_DEP_2)
	v_add_f64 v[16:17], v[24:25], v[16:17]
	v_add_f64 v[20:21], v[183:184], v[20:21]
	s_delay_alu instid0(VALU_DEP_2) | instskip(SKIP_3) | instid1(VALU_DEP_2)
	v_add_f64 v[16:17], v[28:29], v[16:17]
	s_waitcnt vmcnt(0)
	v_add_f64 v[18:19], v[18:19], v[30:31]
	v_mul_f64 v[30:31], v[209:210], s[24:25]
	v_add_f64 v[18:19], v[22:23], v[18:19]
	s_delay_alu instid0(VALU_DEP_2) | instskip(SKIP_1) | instid1(VALU_DEP_3)
	v_add_f64 v[30:31], v[30:31], -v[249:250]
	v_mul_f64 v[22:23], v[213:214], s[28:29]
	v_add_f64 v[18:19], v[26:27], v[18:19]
	s_delay_alu instid0(VALU_DEP_2) | instskip(NEXT) | instid1(VALU_DEP_2)
	v_add_f64 v[22:23], v[22:23], -v[251:252]
	v_add_f64 v[24:25], v[30:31], v[18:19]
	v_add_f64 v[18:19], v[20:21], v[16:17]
	scratch_load_b64 v[20:21], off, off offset:364 ; 8-byte Folded Reload
	v_add_f64 v[16:17], v[22:23], v[24:25]
	s_clause 0x1
	scratch_load_b64 v[24:25], off, off offset:220
	scratch_load_b64 v[22:23], off, off offset:372
	s_waitcnt vmcnt(2)
	v_add_f64 v[20:21], v[20:21], v[168:169]
	s_delay_alu instid0(VALU_DEP_1) | instskip(SKIP_1) | instid1(VALU_DEP_1)
	v_add_f64 v[20:21], v[20:21], v[172:173]
	s_waitcnt vmcnt(1)
	v_add_f64 v[20:21], v[20:21], v[24:25]
	scratch_load_b64 v[24:25], off, off offset:212 ; 8-byte Folded Reload
	s_waitcnt vmcnt(1)
	v_add_f64 v[22:23], v[22:23], v[166:167]
	s_delay_alu instid0(VALU_DEP_1) | instskip(SKIP_1) | instid1(VALU_DEP_1)
	v_add_f64 v[22:23], v[22:23], v[170:171]
	s_waitcnt vmcnt(0)
	v_add_f64 v[22:23], v[22:23], v[24:25]
	scratch_load_b64 v[24:25], off, off offset:236 ; 8-byte Folded Reload
	s_waitcnt vmcnt(0)
	v_add_f64 v[20:21], v[20:21], v[24:25]
	scratch_load_b64 v[24:25], off, off offset:228 ; 8-byte Folded Reload
	v_add_f64 v[20:21], v[20:21], v[110:111]
	s_delay_alu instid0(VALU_DEP_1) | instskip(NEXT) | instid1(VALU_DEP_1)
	v_add_f64 v[20:21], v[20:21], v[116:117]
	v_add_f64 v[20:21], v[20:21], v[120:121]
	s_waitcnt vmcnt(0)
	v_add_f64 v[22:23], v[22:23], v[24:25]
	scratch_load_b64 v[24:25], off, off offset:244 ; 8-byte Folded Reload
	v_add_f64 v[22:23], v[22:23], v[122:123]
	s_delay_alu instid0(VALU_DEP_1) | instskip(SKIP_1) | instid1(VALU_DEP_1)
	v_add_f64 v[22:23], v[22:23], v[108:109]
	s_waitcnt vmcnt(0)
	v_add_f64 v[22:23], v[22:23], v[24:25]
	scratch_load_b64 v[24:25], off, off offset:204 ; 8-byte Folded Reload
	s_waitcnt vmcnt(0)
	v_add_f64 v[20:21], v[20:21], v[24:25]
	scratch_load_b64 v[24:25], off, off offset:196 ; 8-byte Folded Reload
	;; [unrolled: 3-line block ×4, first 2 shown]
	v_add_f64 v[20:21], v[20:21], v[150:151]
	s_waitcnt vmcnt(0)
	v_add_f64 v[22:23], v[22:23], v[24:25]
	s_delay_alu instid0(VALU_DEP_1)
	v_add_f64 v[24:25], v[22:23], v[34:35]
	scratch_load_b64 v[22:23], off, off offset:348 ; 8-byte Folded Reload
	s_waitcnt vmcnt(0)
	v_add_f64 v[22:23], v[20:21], v[22:23]
	scratch_load_b64 v[20:21], off, off offset:356 ; 8-byte Folded Reload
	s_waitcnt vmcnt(0)
	v_add_f64 v[20:21], v[24:25], v[20:21]
	s_clause 0x1
	scratch_load_b32 v24, off, off offset:156
	scratch_load_b32 v25, off, off offset:152
	s_waitcnt vmcnt(1)
	v_mul_u32_u24_e32 v24, 0x75, v24
	s_waitcnt vmcnt(0)
	s_delay_alu instid0(VALU_DEP_1)
	v_add_lshl_u32 v24, v24, v25, 4
	ds_store_b128 v24, v[144:147] offset:288
	ds_store_b128 v24, v[0:3] offset:432
	;; [unrolled: 1-line block ×11, first 2 shown]
	ds_store_b128 v24, v[20:23]
	ds_store_b128 v24, v[124:127] offset:1728
.LBB0_5:
	s_or_b32 exec_lo, exec_lo, s33
	v_lshlrev_b32_e32 v0, 5, v227
	s_waitcnt lgkmcnt(0)
	s_waitcnt_vscnt null, 0x0
	s_barrier
	buffer_gl0_inv
	s_mov_b32 s14, 0xe8584caa
	s_clause 0x1
	global_load_b128 v[100:103], v0, s[10:11] offset:1824
	global_load_b128 v[108:111], v0, s[10:11] offset:1840
	ds_load_b128 v[1:4], v176 offset:5616
	ds_load_b128 v[5:8], v176 offset:3744
	s_mov_b32 s15, 0x3febb67a
	s_mov_b32 s13, 0xbfebb67a
	;; [unrolled: 1-line block ×3, first 2 shown]
	s_waitcnt vmcnt(1) lgkmcnt(1)
	v_mul_f64 v[9:10], v[3:4], v[102:103]
	s_delay_alu instid0(VALU_DEP_1) | instskip(SKIP_1) | instid1(VALU_DEP_1)
	v_fma_f64 v[17:18], v[1:2], v[100:101], -v[9:10]
	v_mul_f64 v[1:2], v[1:2], v[102:103]
	v_fma_f64 v[19:20], v[3:4], v[100:101], v[1:2]
	ds_load_b128 v[1:4], v176 offset:11232
	ds_load_b128 v[9:12], v176 offset:13104
	s_waitcnt vmcnt(0) lgkmcnt(1)
	v_mul_f64 v[13:14], v[3:4], v[110:111]
	s_delay_alu instid0(VALU_DEP_1) | instskip(SKIP_1) | instid1(VALU_DEP_1)
	v_fma_f64 v[21:22], v[1:2], v[108:109], -v[13:14]
	v_mul_f64 v[1:2], v[1:2], v[110:111]
	v_fma_f64 v[23:24], v[3:4], v[108:109], v[1:2]
	ds_load_b128 v[1:4], v176 offset:7488
	ds_load_b128 v[13:16], v176 offset:9360
	s_waitcnt lgkmcnt(1)
	v_mul_f64 v[25:26], v[3:4], v[102:103]
	s_delay_alu instid0(VALU_DEP_1) | instskip(SKIP_1) | instid1(VALU_DEP_1)
	v_fma_f64 v[25:26], v[1:2], v[100:101], -v[25:26]
	v_mul_f64 v[1:2], v[1:2], v[102:103]
	v_fma_f64 v[27:28], v[3:4], v[100:101], v[1:2]
	v_mul_f64 v[1:2], v[11:12], v[110:111]
	s_delay_alu instid0(VALU_DEP_1) | instskip(SKIP_1) | instid1(VALU_DEP_1)
	v_fma_f64 v[29:30], v[9:10], v[108:109], -v[1:2]
	v_mul_f64 v[1:2], v[9:10], v[110:111]
	v_fma_f64 v[31:32], v[11:12], v[108:109], v[1:2]
	v_mul_u32_u24_e32 v1, 0x8c09, v157
	s_delay_alu instid0(VALU_DEP_1) | instskip(NEXT) | instid1(VALU_DEP_1)
	v_lshrrev_b32_e32 v1, 22, v1
	v_mul_lo_u16 v1, 0x75, v1
	s_delay_alu instid0(VALU_DEP_1) | instskip(NEXT) | instid1(VALU_DEP_1)
	v_sub_nc_u16 v35, v215, v1
	v_lshlrev_b16 v1, 5, v35
	s_delay_alu instid0(VALU_DEP_1) | instskip(NEXT) | instid1(VALU_DEP_1)
	v_and_b32_e32 v1, 0xffff, v1
	v_add_co_u32 v1, s0, s10, v1
	s_delay_alu instid0(VALU_DEP_1)
	v_add_co_ci_u32_e64 v2, null, s11, 0, s0
	s_clause 0x1
	global_load_b128 v[144:147], v[1:2], off offset:1824
	global_load_b128 v[140:143], v[1:2], off offset:1840
	s_waitcnt vmcnt(1) lgkmcnt(0)
	v_mul_f64 v[1:2], v[15:16], v[146:147]
	s_delay_alu instid0(VALU_DEP_1) | instskip(SKIP_2) | instid1(VALU_DEP_2)
	v_fma_f64 v[33:34], v[13:14], v[144:145], -v[1:2]
	v_mul_f64 v[1:2], v[13:14], v[146:147]
	v_add_f64 v[13:14], v[17:18], v[21:22]
	v_fma_f64 v[116:117], v[15:16], v[144:145], v[1:2]
	ds_load_b128 v[1:4], v176 offset:14976
	s_waitcnt vmcnt(0) lgkmcnt(0)
	v_mul_f64 v[9:10], v[3:4], v[142:143]
	s_delay_alu instid0(VALU_DEP_1) | instskip(SKIP_1) | instid1(VALU_DEP_1)
	v_fma_f64 v[118:119], v[1:2], v[140:141], -v[9:10]
	v_mul_f64 v[1:2], v[1:2], v[142:143]
	v_fma_f64 v[120:121], v[3:4], v[140:141], v[1:2]
	ds_load_b128 v[1:4], v176
	ds_load_b128 v[9:12], v176 offset:1872
	s_waitcnt lgkmcnt(0)
	s_barrier
	buffer_gl0_inv
	v_fma_f64 v[15:16], v[13:14], -0.5, v[1:2]
	v_add_f64 v[13:14], v[19:20], v[23:24]
	v_add_f64 v[1:2], v[1:2], v[17:18]
	s_delay_alu instid0(VALU_DEP_2) | instskip(SKIP_2) | instid1(VALU_DEP_4)
	v_fma_f64 v[122:123], v[13:14], -0.5, v[3:4]
	v_add_f64 v[3:4], v[3:4], v[19:20]
	v_add_f64 v[19:20], v[19:20], -v[23:24]
	v_add_f64 v[1:2], v[1:2], v[21:22]
	v_add_f64 v[21:22], v[17:18], -v[21:22]
	s_delay_alu instid0(VALU_DEP_4) | instskip(NEXT) | instid1(VALU_DEP_4)
	v_add_f64 v[3:4], v[3:4], v[23:24]
	v_fma_f64 v[13:14], v[19:20], s[14:15], v[15:16]
	v_fma_f64 v[17:18], v[19:20], s[12:13], v[15:16]
	s_delay_alu instid0(VALU_DEP_4) | instskip(SKIP_2) | instid1(VALU_DEP_1)
	v_fma_f64 v[15:16], v[21:22], s[12:13], v[122:123]
	v_fma_f64 v[19:20], v[21:22], s[14:15], v[122:123]
	v_add_f64 v[21:22], v[25:26], v[29:30]
	v_fma_f64 v[23:24], v[21:22], -0.5, v[9:10]
	v_add_f64 v[21:22], v[27:28], v[31:32]
	v_add_f64 v[9:10], v[9:10], v[25:26]
	s_delay_alu instid0(VALU_DEP_2) | instskip(SKIP_2) | instid1(VALU_DEP_4)
	v_fma_f64 v[122:123], v[21:22], -0.5, v[11:12]
	v_add_f64 v[11:12], v[11:12], v[27:28]
	v_add_f64 v[27:28], v[27:28], -v[31:32]
	v_add_f64 v[9:10], v[9:10], v[29:30]
	v_add_f64 v[29:30], v[25:26], -v[29:30]
	s_delay_alu instid0(VALU_DEP_4) | instskip(NEXT) | instid1(VALU_DEP_4)
	v_add_f64 v[11:12], v[11:12], v[31:32]
	v_fma_f64 v[21:22], v[27:28], s[14:15], v[23:24]
	v_fma_f64 v[25:26], v[27:28], s[12:13], v[23:24]
	s_delay_alu instid0(VALU_DEP_4)
	v_fma_f64 v[23:24], v[29:30], s[12:13], v[122:123]
	v_fma_f64 v[27:28], v[29:30], s[14:15], v[122:123]
	v_add_f64 v[29:30], v[33:34], v[118:119]
	ds_store_b128 v176, v[1:4]
	ds_store_b128 v176, v[13:16] offset:1872
	ds_store_b128 v176, v[9:12] offset:5616
	;; [unrolled: 1-line block ×5, first 2 shown]
	v_add_co_u32 v2, s0, s10, v0
	v_and_b32_e32 v1, 0xffff, v35
	v_add_co_ci_u32_e64 v3, null, s11, 0, s0
	v_fma_f64 v[31:32], v[29:30], -0.5, v[5:6]
	v_add_f64 v[29:30], v[116:117], v[120:121]
	v_add_f64 v[5:6], v[5:6], v[33:34]
	v_add_f64 v[33:34], v[33:34], -v[118:119]
	v_add_co_u32 v0, s0, 0x1000, v2
	v_lshlrev_b32_e32 v179, 4, v1
	v_add_co_ci_u32_e64 v1, s0, 0, v3, s0
	v_add_co_u32 v2, s0, 0x15c0, v2
	s_delay_alu instid0(VALU_DEP_1) | instskip(SKIP_4) | instid1(VALU_DEP_4)
	v_add_co_ci_u32_e64 v3, s0, 0, v3, s0
	v_fma_f64 v[122:123], v[29:30], -0.5, v[7:8]
	v_add_f64 v[7:8], v[7:8], v[116:117]
	v_add_f64 v[116:117], v[116:117], -v[120:121]
	v_add_f64 v[5:6], v[5:6], v[118:119]
	v_fma_f64 v[118:119], v[33:34], s[14:15], v[122:123]
	s_delay_alu instid0(VALU_DEP_4) | instskip(NEXT) | instid1(VALU_DEP_4)
	v_add_f64 v[7:8], v[7:8], v[120:121]
	v_fma_f64 v[29:30], v[116:117], s[14:15], v[31:32]
	v_fma_f64 v[116:117], v[116:117], s[12:13], v[31:32]
	;; [unrolled: 1-line block ×3, first 2 shown]
	ds_store_b128 v179, v[5:8] offset:11232
	ds_store_b128 v179, v[29:32] offset:13104
	;; [unrolled: 1-line block ×3, first 2 shown]
	s_waitcnt lgkmcnt(0)
	s_barrier
	buffer_gl0_inv
	s_clause 0x1
	global_load_b128 v[116:119], v[0:1], off offset:1472
	global_load_b128 v[120:123], v[2:3], off offset:16
	ds_load_b128 v[0:3], v176 offset:5616
	ds_load_b128 v[4:7], v176 offset:3744
	s_waitcnt vmcnt(1) lgkmcnt(1)
	v_mul_f64 v[8:9], v[2:3], v[118:119]
	s_delay_alu instid0(VALU_DEP_1) | instskip(SKIP_1) | instid1(VALU_DEP_1)
	v_fma_f64 v[16:17], v[0:1], v[116:117], -v[8:9]
	v_mul_f64 v[0:1], v[0:1], v[118:119]
	v_fma_f64 v[18:19], v[2:3], v[116:117], v[0:1]
	ds_load_b128 v[0:3], v176 offset:11232
	ds_load_b128 v[8:11], v176 offset:13104
	s_waitcnt vmcnt(0) lgkmcnt(1)
	v_mul_f64 v[12:13], v[2:3], v[122:123]
	s_delay_alu instid0(VALU_DEP_1) | instskip(SKIP_1) | instid1(VALU_DEP_1)
	v_fma_f64 v[20:21], v[0:1], v[120:121], -v[12:13]
	v_mul_f64 v[0:1], v[0:1], v[122:123]
	v_fma_f64 v[22:23], v[2:3], v[120:121], v[0:1]
	v_lshlrev_b32_e32 v0, 5, v255
	s_delay_alu instid0(VALU_DEP_1) | instskip(NEXT) | instid1(VALU_DEP_1)
	v_add_co_u32 v2, s0, s10, v0
	v_add_co_ci_u32_e64 v3, null, s11, 0, s0
	s_delay_alu instid0(VALU_DEP_2) | instskip(NEXT) | instid1(VALU_DEP_1)
	v_add_co_u32 v0, s0, 0x1000, v2
	v_add_co_ci_u32_e64 v1, s0, 0, v3, s0
	v_add_co_u32 v2, s0, 0x15c0, v2
	s_delay_alu instid0(VALU_DEP_1)
	v_add_co_ci_u32_e64 v3, s0, 0, v3, s0
	s_clause 0x1
	global_load_b128 v[148:151], v[0:1], off offset:1472
	global_load_b128 v[152:155], v[2:3], off offset:16
	ds_load_b128 v[0:3], v176 offset:7488
	ds_load_b128 v[12:15], v176 offset:9360
	s_waitcnt vmcnt(1) lgkmcnt(1)
	v_mul_f64 v[24:25], v[2:3], v[150:151]
	s_delay_alu instid0(VALU_DEP_1) | instskip(SKIP_1) | instid1(VALU_DEP_1)
	v_fma_f64 v[24:25], v[0:1], v[148:149], -v[24:25]
	v_mul_f64 v[0:1], v[0:1], v[150:151]
	v_fma_f64 v[26:27], v[2:3], v[148:149], v[0:1]
	s_waitcnt vmcnt(0)
	v_mul_f64 v[0:1], v[10:11], v[154:155]
	s_delay_alu instid0(VALU_DEP_1) | instskip(SKIP_1) | instid1(VALU_DEP_1)
	v_fma_f64 v[28:29], v[8:9], v[152:153], -v[0:1]
	v_mul_f64 v[0:1], v[8:9], v[154:155]
	v_fma_f64 v[30:31], v[10:11], v[152:153], v[0:1]
	v_lshlrev_b32_e32 v0, 5, v215
	s_delay_alu instid0(VALU_DEP_1) | instskip(NEXT) | instid1(VALU_DEP_1)
	v_add_co_u32 v2, s0, s10, v0
	v_add_co_ci_u32_e64 v3, null, s11, 0, s0
	s_delay_alu instid0(VALU_DEP_2) | instskip(NEXT) | instid1(VALU_DEP_1)
	v_add_co_u32 v0, s0, 0x1000, v2
	v_add_co_ci_u32_e64 v1, s0, 0, v3, s0
	v_add_co_u32 v2, s0, 0x15c0, v2
	s_delay_alu instid0(VALU_DEP_1)
	v_add_co_ci_u32_e64 v3, s0, 0, v3, s0
	s_clause 0x1
	global_load_b128 v[156:159], v[0:1], off offset:1472
	global_load_b128 v[160:163], v[2:3], off offset:16
	s_waitcnt vmcnt(1) lgkmcnt(0)
	v_mul_f64 v[0:1], v[14:15], v[158:159]
	s_delay_alu instid0(VALU_DEP_1) | instskip(SKIP_2) | instid1(VALU_DEP_2)
	v_fma_f64 v[32:33], v[12:13], v[156:157], -v[0:1]
	v_mul_f64 v[0:1], v[12:13], v[158:159]
	v_add_f64 v[12:13], v[16:17], v[20:21]
	v_fma_f64 v[34:35], v[14:15], v[156:157], v[0:1]
	ds_load_b128 v[0:3], v176 offset:14976
	s_waitcnt vmcnt(0) lgkmcnt(0)
	v_mul_f64 v[8:9], v[2:3], v[162:163]
	s_delay_alu instid0(VALU_DEP_1) | instskip(SKIP_1) | instid1(VALU_DEP_1)
	v_fma_f64 v[164:165], v[0:1], v[160:161], -v[8:9]
	v_mul_f64 v[0:1], v[0:1], v[162:163]
	v_fma_f64 v[166:167], v[2:3], v[160:161], v[0:1]
	ds_load_b128 v[0:3], v176
	ds_load_b128 v[8:11], v176 offset:1872
	s_waitcnt lgkmcnt(1)
	v_fma_f64 v[14:15], v[12:13], -0.5, v[0:1]
	v_add_f64 v[12:13], v[18:19], v[22:23]
	v_add_f64 v[0:1], v[0:1], v[16:17]
	s_delay_alu instid0(VALU_DEP_2) | instskip(SKIP_2) | instid1(VALU_DEP_4)
	v_fma_f64 v[168:169], v[12:13], -0.5, v[2:3]
	v_add_f64 v[2:3], v[2:3], v[18:19]
	v_add_f64 v[18:19], v[18:19], -v[22:23]
	v_add_f64 v[0:1], v[0:1], v[20:21]
	v_add_f64 v[20:21], v[16:17], -v[20:21]
	s_delay_alu instid0(VALU_DEP_4) | instskip(NEXT) | instid1(VALU_DEP_4)
	v_add_f64 v[2:3], v[2:3], v[22:23]
	v_fma_f64 v[12:13], v[18:19], s[14:15], v[14:15]
	v_fma_f64 v[16:17], v[18:19], s[12:13], v[14:15]
	s_delay_alu instid0(VALU_DEP_4) | instskip(SKIP_3) | instid1(VALU_DEP_1)
	v_fma_f64 v[14:15], v[20:21], s[12:13], v[168:169]
	v_fma_f64 v[18:19], v[20:21], s[14:15], v[168:169]
	v_add_f64 v[20:21], v[24:25], v[28:29]
	s_waitcnt lgkmcnt(0)
	v_fma_f64 v[22:23], v[20:21], -0.5, v[8:9]
	v_add_f64 v[20:21], v[26:27], v[30:31]
	v_add_f64 v[8:9], v[8:9], v[24:25]
	s_delay_alu instid0(VALU_DEP_2) | instskip(SKIP_2) | instid1(VALU_DEP_4)
	v_fma_f64 v[168:169], v[20:21], -0.5, v[10:11]
	v_add_f64 v[10:11], v[10:11], v[26:27]
	v_add_f64 v[26:27], v[26:27], -v[30:31]
	v_add_f64 v[8:9], v[8:9], v[28:29]
	v_add_f64 v[28:29], v[24:25], -v[28:29]
	s_delay_alu instid0(VALU_DEP_4) | instskip(NEXT) | instid1(VALU_DEP_4)
	v_add_f64 v[10:11], v[10:11], v[30:31]
	v_fma_f64 v[20:21], v[26:27], s[14:15], v[22:23]
	v_fma_f64 v[24:25], v[26:27], s[12:13], v[22:23]
	s_delay_alu instid0(VALU_DEP_4) | instskip(SKIP_2) | instid1(VALU_DEP_1)
	v_fma_f64 v[26:27], v[28:29], s[14:15], v[168:169]
	v_fma_f64 v[22:23], v[28:29], s[12:13], v[168:169]
	v_add_f64 v[28:29], v[32:33], v[164:165]
	v_fma_f64 v[30:31], v[28:29], -0.5, v[4:5]
	v_add_f64 v[28:29], v[34:35], v[166:167]
	v_add_f64 v[4:5], v[4:5], v[32:33]
	s_delay_alu instid0(VALU_DEP_2) | instskip(SKIP_2) | instid1(VALU_DEP_4)
	v_fma_f64 v[168:169], v[28:29], -0.5, v[6:7]
	v_add_f64 v[6:7], v[6:7], v[34:35]
	v_add_f64 v[34:35], v[34:35], -v[166:167]
	v_add_f64 v[4:5], v[4:5], v[164:165]
	v_add_f64 v[164:165], v[32:33], -v[164:165]
	s_delay_alu instid0(VALU_DEP_4) | instskip(NEXT) | instid1(VALU_DEP_4)
	v_add_f64 v[6:7], v[6:7], v[166:167]
	v_fma_f64 v[28:29], v[34:35], s[14:15], v[30:31]
	v_fma_f64 v[32:33], v[34:35], s[12:13], v[30:31]
	s_delay_alu instid0(VALU_DEP_4)
	v_fma_f64 v[30:31], v[164:165], s[12:13], v[168:169]
	v_fma_f64 v[34:35], v[164:165], s[14:15], v[168:169]
	ds_store_b128 v176, v[0:3]
	ds_store_b128 v176, v[8:11] offset:1872
	ds_store_b128 v176, v[16:19] offset:11232
	;; [unrolled: 1-line block ×8, first 2 shown]
	v_lshlrev_b32_e32 v0, 4, v227
	s_waitcnt lgkmcnt(0)
	s_barrier
	buffer_gl0_inv
	v_add_co_u32 v34, s0, s8, v0
	s_delay_alu instid0(VALU_DEP_1) | instskip(NEXT) | instid1(VALU_DEP_2)
	v_add_co_ci_u32_e64 v35, null, s9, 0, s0
	v_add_co_u32 v0, s0, 0x4000, v34
	s_delay_alu instid0(VALU_DEP_1) | instskip(SKIP_1) | instid1(VALU_DEP_1)
	v_add_co_ci_u32_e64 v1, s0, 0, v35, s0
	v_add_co_u32 v164, s0, 0x5000, v34
	v_add_co_ci_u32_e64 v165, s0, 0, v35, s0
	s_clause 0x1
	global_load_b128 v[0:3], v[0:1], off offset:464
	global_load_b128 v[4:7], v[164:165], off offset:1984
	ds_load_b128 v[8:11], v176
	ds_load_b128 v[12:15], v176 offset:1872
	v_add_co_u32 v166, s0, 0x6000, v34
	s_delay_alu instid0(VALU_DEP_1) | instskip(SKIP_1) | instid1(VALU_DEP_1)
	v_add_co_ci_u32_e64 v167, s0, 0, v35, s0
	v_add_co_u32 v177, s0, 0x7000, v34
	v_add_co_ci_u32_e64 v178, s0, 0, v35, s0
	s_waitcnt vmcnt(1) lgkmcnt(1)
	v_mul_f64 v[16:17], v[10:11], v[2:3]
	v_mul_f64 v[2:3], v[8:9], v[2:3]
	s_delay_alu instid0(VALU_DEP_2) | instskip(NEXT) | instid1(VALU_DEP_2)
	v_fma_f64 v[8:9], v[8:9], v[0:1], -v[16:17]
	v_fma_f64 v[10:11], v[10:11], v[0:1], v[2:3]
	ds_load_b128 v[0:3], v176 offset:5616
	ds_load_b128 v[16:19], v176 offset:3744
	global_load_b128 v[24:27], v[177:178], off offset:1280
	ds_load_b128 v[28:31], v176 offset:13104
	s_waitcnt vmcnt(1) lgkmcnt(2)
	v_mul_f64 v[20:21], v[2:3], v[6:7]
	v_mul_f64 v[6:7], v[0:1], v[6:7]
	s_delay_alu instid0(VALU_DEP_2) | instskip(NEXT) | instid1(VALU_DEP_2)
	v_fma_f64 v[0:1], v[0:1], v[4:5], -v[20:21]
	v_fma_f64 v[2:3], v[2:3], v[4:5], v[6:7]
	global_load_b128 v[4:7], v[166:167], off offset:3504
	ds_load_b128 v[20:23], v176 offset:11232
	s_waitcnt vmcnt(0) lgkmcnt(0)
	v_mul_f64 v[32:33], v[22:23], v[6:7]
	v_mul_f64 v[6:7], v[20:21], v[6:7]
	s_delay_alu instid0(VALU_DEP_2) | instskip(SKIP_1) | instid1(VALU_DEP_1)
	v_fma_f64 v[20:21], v[20:21], v[4:5], -v[32:33]
	v_add_co_u32 v32, s0, 0x41d0, v34
	v_add_co_ci_u32_e64 v33, s0, 0, v35, s0
	s_delay_alu instid0(VALU_DEP_4)
	v_fma_f64 v[22:23], v[22:23], v[4:5], v[6:7]
	s_clause 0x1
	global_load_b128 v[4:7], v[32:33], off offset:1872
	global_load_b128 v[32:35], v[32:33], off offset:3744
	s_waitcnt vmcnt(1)
	v_mul_f64 v[168:169], v[14:15], v[6:7]
	v_mul_f64 v[6:7], v[12:13], v[6:7]
	s_delay_alu instid0(VALU_DEP_2) | instskip(NEXT) | instid1(VALU_DEP_2)
	v_fma_f64 v[12:13], v[12:13], v[4:5], -v[168:169]
	v_fma_f64 v[14:15], v[14:15], v[4:5], v[6:7]
	s_clause 0x1
	global_load_b128 v[4:7], v[164:165], off offset:3856
	global_load_b128 v[164:167], v[166:167], off offset:1632
	ds_load_b128 v[168:171], v176 offset:7488
	ds_load_b128 v[172:175], v176 offset:9360
	s_waitcnt vmcnt(1) lgkmcnt(1)
	v_mul_f64 v[180:181], v[170:171], v[6:7]
	v_mul_f64 v[6:7], v[168:169], v[6:7]
	s_delay_alu instid0(VALU_DEP_2) | instskip(NEXT) | instid1(VALU_DEP_2)
	v_fma_f64 v[168:169], v[168:169], v[4:5], -v[180:181]
	v_fma_f64 v[170:171], v[170:171], v[4:5], v[6:7]
	v_mul_f64 v[4:5], v[30:31], v[26:27]
	v_mul_f64 v[6:7], v[28:29], v[26:27]
	;; [unrolled: 1-line block ×3, first 2 shown]
	s_delay_alu instid0(VALU_DEP_3) | instskip(NEXT) | instid1(VALU_DEP_3)
	v_fma_f64 v[4:5], v[28:29], v[24:25], -v[4:5]
	v_fma_f64 v[6:7], v[30:31], v[24:25], v[6:7]
	global_load_b128 v[28:31], v[177:178], off offset:3152
	v_mul_f64 v[24:25], v[18:19], v[34:35]
	v_fma_f64 v[18:19], v[18:19], v[32:33], v[26:27]
	s_waitcnt vmcnt(1) lgkmcnt(0)
	v_mul_f64 v[26:27], v[172:173], v[166:167]
	s_delay_alu instid0(VALU_DEP_3)
	v_fma_f64 v[16:17], v[16:17], v[32:33], -v[24:25]
	v_mul_f64 v[24:25], v[174:175], v[166:167]
	ds_load_b128 v[32:35], v176 offset:14976
	v_fma_f64 v[26:27], v[174:175], v[164:165], v[26:27]
	v_fma_f64 v[24:25], v[172:173], v[164:165], -v[24:25]
	s_waitcnt vmcnt(0) lgkmcnt(0)
	v_mul_f64 v[164:165], v[34:35], v[30:31]
	v_mul_f64 v[166:167], v[32:33], v[30:31]
	s_delay_alu instid0(VALU_DEP_2) | instskip(NEXT) | instid1(VALU_DEP_2)
	v_fma_f64 v[30:31], v[32:33], v[28:29], -v[164:165]
	v_fma_f64 v[32:33], v[34:35], v[28:29], v[166:167]
	ds_store_b128 v176, v[8:11]
	ds_store_b128 v176, v[12:15] offset:1872
	ds_store_b128 v176, v[20:23] offset:11232
	;; [unrolled: 1-line block ×8, first 2 shown]
	s_waitcnt lgkmcnt(0)
	s_barrier
	buffer_gl0_inv
	ds_load_b128 v[0:3], v176 offset:5616
	ds_load_b128 v[4:7], v176
	ds_load_b128 v[8:11], v176 offset:1872
	ds_load_b128 v[12:15], v176 offset:3744
	;; [unrolled: 1-line block ×4, first 2 shown]
	s_waitcnt lgkmcnt(4)
	v_add_f64 v[24:25], v[4:5], v[0:1]
	v_add_f64 v[26:27], v[6:7], v[2:3]
	s_waitcnt lgkmcnt(1)
	v_add_f64 v[28:29], v[0:1], v[16:17]
	v_add_f64 v[30:31], v[2:3], v[18:19]
	v_add_f64 v[32:33], v[2:3], -v[18:19]
	v_add_f64 v[34:35], v[0:1], -v[16:17]
	v_add_f64 v[0:1], v[24:25], v[16:17]
	v_add_f64 v[2:3], v[26:27], v[18:19]
	ds_load_b128 v[16:19], v176 offset:7488
	ds_load_b128 v[24:27], v176 offset:9360
	s_waitcnt lgkmcnt(1)
	v_add_f64 v[164:165], v[8:9], v[16:17]
	v_add_f64 v[166:167], v[10:11], v[18:19]
	;; [unrolled: 1-line block ×4, first 2 shown]
	v_add_f64 v[172:173], v[18:19], -v[22:23]
	v_add_f64 v[174:175], v[16:17], -v[20:21]
	v_add_f64 v[16:17], v[164:165], v[20:21]
	v_add_f64 v[18:19], v[166:167], v[22:23]
	ds_load_b128 v[20:23], v176 offset:14976
	s_waitcnt lgkmcnt(1)
	v_add_f64 v[164:165], v[12:13], v[24:25]
	s_waitcnt lgkmcnt(0)
	s_barrier
	buffer_gl0_inv
	v_add_f64 v[166:167], v[14:15], v[26:27]
	v_add_f64 v[177:178], v[24:25], v[20:21]
	v_add_f64 v[184:185], v[24:25], -v[20:21]
	v_fma_f64 v[24:25], v[28:29], -0.5, v[4:5]
	scratch_load_b32 v28, off, off offset:176 ; 4-byte Folded Reload
	v_add_f64 v[180:181], v[26:27], v[22:23]
	v_add_f64 v[182:183], v[26:27], -v[22:23]
	v_fma_f64 v[26:27], v[30:31], -0.5, v[6:7]
	v_add_f64 v[20:21], v[164:165], v[20:21]
	v_add_f64 v[22:23], v[166:167], v[22:23]
	v_fma_f64 v[4:5], v[32:33], s[12:13], v[24:25]
	v_fma_f64 v[24:25], v[32:33], s[14:15], v[24:25]
	;; [unrolled: 1-line block ×4, first 2 shown]
	s_waitcnt vmcnt(0)
	ds_store_b128 v28, v[0:3]
	ds_store_b128 v28, v[4:7] offset:16
	ds_store_b128 v28, v[24:27] offset:32
	v_fma_f64 v[2:3], v[168:169], -0.5, v[8:9]
	scratch_load_b32 v8, off, off offset:172 ; 4-byte Folded Reload
	v_fma_f64 v[6:7], v[170:171], -0.5, v[10:11]
	v_fma_f64 v[0:1], v[172:173], s[12:13], v[2:3]
	v_fma_f64 v[4:5], v[172:173], s[14:15], v[2:3]
	s_delay_alu instid0(VALU_DEP_3)
	v_fma_f64 v[2:3], v[174:175], s[14:15], v[6:7]
	v_fma_f64 v[6:7], v[174:175], s[12:13], v[6:7]
	s_waitcnt vmcnt(0)
	ds_store_b128 v8, v[16:19]
	ds_store_b128 v8, v[0:3] offset:16
	ds_store_b128 v8, v[4:7] offset:32
	scratch_load_b32 v8, off, off offset:168 ; 4-byte Folded Reload
	v_fma_f64 v[2:3], v[177:178], -0.5, v[12:13]
	v_fma_f64 v[6:7], v[180:181], -0.5, v[14:15]
	s_delay_alu instid0(VALU_DEP_2) | instskip(SKIP_1) | instid1(VALU_DEP_3)
	v_fma_f64 v[0:1], v[182:183], s[12:13], v[2:3]
	v_fma_f64 v[4:5], v[182:183], s[14:15], v[2:3]
	;; [unrolled: 1-line block ×4, first 2 shown]
	s_waitcnt vmcnt(0)
	ds_store_b128 v8, v[20:23]
	ds_store_b128 v8, v[0:3] offset:16
	ds_store_b128 v8, v[4:7] offset:32
	s_waitcnt lgkmcnt(0)
	s_barrier
	buffer_gl0_inv
	ds_load_b128 v[0:3], v176 offset:5616
	ds_load_b128 v[4:7], v176 offset:3744
	s_waitcnt lgkmcnt(1)
	v_mul_f64 v[8:9], v[62:63], v[2:3]
	s_delay_alu instid0(VALU_DEP_1) | instskip(SKIP_1) | instid1(VALU_DEP_1)
	v_fma_f64 v[16:17], v[60:61], v[0:1], v[8:9]
	v_mul_f64 v[0:1], v[62:63], v[0:1]
	v_fma_f64 v[18:19], v[60:61], v[2:3], -v[0:1]
	ds_load_b128 v[0:3], v176 offset:11232
	ds_load_b128 v[8:11], v176 offset:13104
	s_waitcnt lgkmcnt(1)
	v_mul_f64 v[12:13], v[58:59], v[2:3]
	s_delay_alu instid0(VALU_DEP_1) | instskip(SKIP_1) | instid1(VALU_DEP_1)
	v_fma_f64 v[20:21], v[56:57], v[0:1], v[12:13]
	v_mul_f64 v[0:1], v[58:59], v[0:1]
	v_fma_f64 v[22:23], v[56:57], v[2:3], -v[0:1]
	;; [unrolled: 8-line block ×3, first 2 shown]
	v_mul_f64 v[0:1], v[42:43], v[10:11]
	s_delay_alu instid0(VALU_DEP_1) | instskip(SKIP_1) | instid1(VALU_DEP_1)
	v_fma_f64 v[28:29], v[40:41], v[8:9], v[0:1]
	v_mul_f64 v[0:1], v[42:43], v[8:9]
	v_fma_f64 v[30:31], v[40:41], v[10:11], -v[0:1]
	s_waitcnt lgkmcnt(0)
	v_mul_f64 v[0:1], v[46:47], v[14:15]
	s_delay_alu instid0(VALU_DEP_1) | instskip(SKIP_1) | instid1(VALU_DEP_1)
	v_fma_f64 v[32:33], v[44:45], v[12:13], v[0:1]
	v_mul_f64 v[0:1], v[46:47], v[12:13]
	v_fma_f64 v[12:13], v[44:45], v[14:15], -v[0:1]
	ds_load_b128 v[0:3], v176 offset:14976
	s_waitcnt lgkmcnt(0)
	v_mul_f64 v[8:9], v[38:39], v[2:3]
	s_delay_alu instid0(VALU_DEP_1) | instskip(SKIP_1) | instid1(VALU_DEP_1)
	v_fma_f64 v[14:15], v[36:37], v[0:1], v[8:9]
	v_mul_f64 v[0:1], v[38:39], v[0:1]
	v_fma_f64 v[34:35], v[36:37], v[2:3], -v[0:1]
	v_add_f64 v[36:37], v[16:17], v[20:21]
	ds_load_b128 v[0:3], v176
	ds_load_b128 v[8:11], v176 offset:1872
	s_waitcnt lgkmcnt(0)
	s_barrier
	buffer_gl0_inv
	v_fma_f64 v[40:41], v[36:37], -0.5, v[0:1]
	v_add_f64 v[36:37], v[18:19], v[22:23]
	v_add_f64 v[0:1], v[0:1], v[16:17]
	s_delay_alu instid0(VALU_DEP_2) | instskip(NEXT) | instid1(VALU_DEP_2)
	v_fma_f64 v[42:43], v[36:37], -0.5, v[2:3]
	v_add_f64 v[36:37], v[0:1], v[20:21]
	v_add_f64 v[0:1], v[16:17], -v[20:21]
	v_add_f64 v[2:3], v[2:3], v[18:19]
	v_add_f64 v[16:17], v[26:27], -v[30:31]
	v_add_f64 v[18:19], v[18:19], -v[22:23]
	s_delay_alu instid0(VALU_DEP_4)
	v_fma_f64 v[46:47], v[0:1], s[14:15], v[42:43]
	v_fma_f64 v[42:43], v[0:1], s[12:13], v[42:43]
	v_add_f64 v[0:1], v[24:25], v[28:29]
	v_add_f64 v[38:39], v[2:3], v[22:23]
	;; [unrolled: 1-line block ×3, first 2 shown]
	v_fma_f64 v[44:45], v[18:19], s[12:13], v[40:41]
	v_fma_f64 v[40:41], v[18:19], s[14:15], v[40:41]
	v_fma_f64 v[0:1], v[0:1], -0.5, v[8:9]
	v_add_f64 v[8:9], v[8:9], v[24:25]
	v_fma_f64 v[2:3], v[2:3], -0.5, v[10:11]
	v_add_f64 v[10:11], v[10:11], v[26:27]
	s_delay_alu instid0(VALU_DEP_4) | instskip(NEXT) | instid1(VALU_DEP_4)
	v_fma_f64 v[56:57], v[16:17], s[12:13], v[0:1]
	v_add_f64 v[48:49], v[8:9], v[28:29]
	v_add_f64 v[8:9], v[24:25], -v[28:29]
	v_fma_f64 v[60:61], v[16:17], s[14:15], v[0:1]
	v_add_f64 v[0:1], v[32:33], v[14:15]
	v_add_f64 v[50:51], v[10:11], v[30:31]
	s_delay_alu instid0(VALU_DEP_4) | instskip(SKIP_1) | instid1(VALU_DEP_4)
	v_fma_f64 v[58:59], v[8:9], s[14:15], v[2:3]
	v_fma_f64 v[62:63], v[8:9], s[12:13], v[2:3]
	v_fma_f64 v[0:1], v[0:1], -0.5, v[4:5]
	v_add_f64 v[8:9], v[12:13], -v[34:35]
	v_add_f64 v[2:3], v[12:13], v[34:35]
	v_add_f64 v[4:5], v[4:5], v[32:33]
	s_delay_alu instid0(VALU_DEP_3)
	v_fma_f64 v[172:173], v[8:9], s[12:13], v[0:1]
	v_fma_f64 v[168:169], v[8:9], s[14:15], v[0:1]
	scratch_load_b32 v0, off, off offset:164 ; 4-byte Folded Reload
	v_fma_f64 v[2:3], v[2:3], -0.5, v[6:7]
	v_add_f64 v[6:7], v[6:7], v[12:13]
	v_add_f64 v[164:165], v[4:5], v[14:15]
	v_add_f64 v[4:5], v[32:33], -v[14:15]
	s_waitcnt vmcnt(0)
	ds_store_b128 v0, v[36:39]
	ds_store_b128 v0, v[44:47] offset:48
	ds_store_b128 v0, v[40:43] offset:96
	scratch_load_b32 v0, off, off offset:160 ; 4-byte Folded Reload
	v_add_f64 v[166:167], v[6:7], v[34:35]
	v_fma_f64 v[174:175], v[4:5], s[14:15], v[2:3]
	v_fma_f64 v[170:171], v[4:5], s[12:13], v[2:3]
	s_waitcnt vmcnt(0)
	ds_store_b128 v0, v[48:51]
	ds_store_b128 v0, v[56:59] offset:48
	ds_store_b128 v0, v[60:63] offset:96
	ds_store_b128 v228, v[164:167]
	ds_store_b128 v228, v[172:175] offset:48
	ds_store_b128 v228, v[168:171] offset:96
	s_waitcnt lgkmcnt(0)
	s_barrier
	buffer_gl0_inv
	s_and_saveexec_b32 s0, vcc_lo
	s_cbranch_execz .LBB0_7
; %bb.6:
	ds_load_b128 v[36:39], v176
	ds_load_b128 v[44:47], v176 offset:1296
	ds_load_b128 v[40:43], v176 offset:2592
	;; [unrolled: 1-line block ×12, first 2 shown]
.LBB0_7:
	s_or_b32 exec_lo, exec_lo, s0
	s_waitcnt lgkmcnt(0)
	s_barrier
	buffer_gl0_inv
	s_and_saveexec_b32 s33, vcc_lo
	s_cbranch_execz .LBB0_9
; %bb.8:
	v_mul_f64 v[0:1], v[106:107], v[166:167]
	v_mul_f64 v[4:5], v[98:99], v[170:171]
	;; [unrolled: 1-line block ×3, first 2 shown]
	s_mov_b32 s34, 0x4267c47c
	s_mov_b32 s24, 0x66966769
	;; [unrolled: 1-line block ×29, first 2 shown]
	v_mov_b32_e32 v240, v227
	s_delay_alu instid0(VALU_DEP_4) | instskip(SKIP_1) | instid1(VALU_DEP_4)
	v_fma_f64 v[177:178], v[104:105], v[164:165], v[0:1]
	v_mul_f64 v[0:1], v[106:107], v[164:165]
	v_fma_f64 v[2:3], v[52:53], v[46:47], -v[2:3]
	s_delay_alu instid0(VALU_DEP_2) | instskip(SKIP_1) | instid1(VALU_DEP_1)
	v_fma_f64 v[106:107], v[104:105], v[166:167], -v[0:1]
	v_mul_f64 v[0:1], v[114:115], v[174:175]
	v_fma_f64 v[104:105], v[112:113], v[172:173], v[0:1]
	v_mul_f64 v[0:1], v[114:115], v[172:173]
	s_delay_alu instid0(VALU_DEP_2) | instskip(NEXT) | instid1(VALU_DEP_2)
	v_add_f64 v[6:7], v[177:178], -v[104:105]
	v_fma_f64 v[112:113], v[112:113], v[174:175], -v[0:1]
	v_mul_f64 v[0:1], v[94:95], v[62:63]
	v_add_f64 v[212:213], v[177:178], v[104:105]
	s_delay_alu instid0(VALU_DEP_4) | instskip(NEXT) | instid1(VALU_DEP_4)
	v_mul_f64 v[24:25], v[6:7], s[34:35]
	v_add_f64 v[10:11], v[106:107], -v[112:113]
	s_delay_alu instid0(VALU_DEP_4)
	v_fma_f64 v[114:115], v[92:93], v[60:61], v[0:1]
	v_mul_f64 v[0:1], v[94:95], v[60:61]
	v_add_f64 v[208:209], v[106:107], v[112:113]
	v_mul_f64 v[210:211], v[6:7], s[24:25]
	v_mul_f64 v[236:237], v[6:7], s[16:17]
	;; [unrolled: 1-line block ×4, first 2 shown]
	v_fma_f64 v[60:61], v[92:93], v[62:63], -v[0:1]
	v_mul_f64 v[0:1], v[54:55], v[46:47]
	v_mul_f64 v[238:239], v[10:11], s[16:17]
	s_delay_alu instid0(VALU_DEP_2) | instskip(SKIP_2) | instid1(VALU_DEP_3)
	v_fma_f64 v[0:1], v[52:53], v[44:45], v[0:1]
	v_fma_f64 v[44:45], v[96:97], v[168:169], v[4:5]
	v_mul_f64 v[4:5], v[98:99], v[168:169]
	v_add_f64 v[184:185], v[36:37], v[0:1]
	s_delay_alu instid0(VALU_DEP_3) | instskip(NEXT) | instid1(VALU_DEP_3)
	v_add_f64 v[8:9], v[114:115], -v[44:45]
	v_fma_f64 v[46:47], v[96:97], v[170:171], -v[4:5]
	v_mul_f64 v[4:5], v[86:87], v[58:59]
	s_delay_alu instid0(VALU_DEP_3) | instskip(NEXT) | instid1(VALU_DEP_3)
	v_mul_f64 v[222:223], v[8:9], s[24:25]
	v_add_f64 v[200:201], v[60:61], v[46:47]
	s_delay_alu instid0(VALU_DEP_3) | instskip(SKIP_1) | instid1(VALU_DEP_1)
	v_fma_f64 v[62:63], v[84:85], v[56:57], v[4:5]
	v_mul_f64 v[4:5], v[86:87], v[56:57]
	v_fma_f64 v[56:57], v[84:85], v[58:59], -v[4:5]
	v_mul_f64 v[4:5], v[90:91], v[138:139]
	s_delay_alu instid0(VALU_DEP_1) | instskip(SKIP_1) | instid1(VALU_DEP_2)
	v_fma_f64 v[52:53], v[88:89], v[136:137], v[4:5]
	v_mul_f64 v[4:5], v[90:91], v[136:137]
	v_add_f64 v[14:15], v[62:63], -v[52:53]
	s_delay_alu instid0(VALU_DEP_2) | instskip(SKIP_2) | instid1(VALU_DEP_4)
	v_fma_f64 v[54:55], v[88:89], v[138:139], -v[4:5]
	v_mul_f64 v[4:5], v[78:79], v[50:51]
	v_add_f64 v[198:199], v[62:63], v[52:53]
	v_mul_f64 v[28:29], v[14:15], s[34:35]
	s_delay_alu instid0(VALU_DEP_4) | instskip(NEXT) | instid1(VALU_DEP_4)
	v_add_f64 v[12:13], v[56:57], -v[54:55]
	v_fma_f64 v[84:85], v[76:77], v[48:49], v[4:5]
	v_mul_f64 v[4:5], v[78:79], v[48:49]
	v_add_f64 v[196:197], v[56:57], v[54:55]
	v_mul_f64 v[218:219], v[14:15], s[36:37]
	v_mul_f64 v[30:31], v[12:13], s[34:35]
	;; [unrolled: 1-line block ×3, first 2 shown]
	v_fma_f64 v[76:77], v[76:77], v[50:51], -v[4:5]
	v_mul_f64 v[4:5], v[82:83], v[134:135]
	s_delay_alu instid0(VALU_DEP_1) | instskip(SKIP_1) | instid1(VALU_DEP_2)
	v_fma_f64 v[48:49], v[80:81], v[132:133], v[4:5]
	v_mul_f64 v[4:5], v[82:83], v[132:133]
	v_add_f64 v[18:19], v[84:85], -v[48:49]
	s_delay_alu instid0(VALU_DEP_2) | instskip(SKIP_2) | instid1(VALU_DEP_4)
	v_fma_f64 v[50:51], v[80:81], v[134:135], -v[4:5]
	v_mul_f64 v[4:5], v[70:71], v[42:43]
	v_add_f64 v[194:195], v[84:85], v[48:49]
	v_mul_f64 v[32:33], v[18:19], s[34:35]
	s_delay_alu instid0(VALU_DEP_4) | instskip(NEXT) | instid1(VALU_DEP_4)
	v_add_f64 v[16:17], v[76:77], -v[50:51]
	v_fma_f64 v[78:79], v[68:69], v[40:41], v[4:5]
	v_mul_f64 v[4:5], v[70:71], v[40:41]
	v_add_f64 v[192:193], v[76:77], v[50:51]
	s_delay_alu instid0(VALU_DEP_4) | instskip(SKIP_1) | instid1(VALU_DEP_4)
	v_mul_f64 v[34:35], v[16:17], s[34:35]
	v_mul_f64 v[216:217], v[16:17], s[18:19]
	v_fma_f64 v[68:69], v[68:69], v[42:43], -v[4:5]
	v_mul_f64 v[4:5], v[74:75], v[130:131]
	s_delay_alu instid0(VALU_DEP_1) | instskip(SKIP_2) | instid1(VALU_DEP_3)
	v_fma_f64 v[40:41], v[72:73], v[128:129], v[4:5]
	v_mul_f64 v[4:5], v[74:75], v[128:129]
	v_mul_f64 v[74:75], v[8:9], s[34:35]
	v_add_f64 v[22:23], v[78:79], -v[40:41]
	s_delay_alu instid0(VALU_DEP_3) | instskip(SKIP_2) | instid1(VALU_DEP_4)
	v_fma_f64 v[58:59], v[72:73], v[130:131], -v[4:5]
	v_mul_f64 v[4:5], v[66:67], v[126:127]
	v_add_f64 v[190:191], v[78:79], v[40:41]
	v_mul_f64 v[226:227], v[22:23], s[18:19]
	s_delay_alu instid0(VALU_DEP_4) | instskip(NEXT) | instid1(VALU_DEP_4)
	v_add_f64 v[20:21], v[68:69], -v[58:59]
	v_fma_f64 v[42:43], v[64:65], v[124:125], v[4:5]
	v_mul_f64 v[4:5], v[66:67], v[124:125]
	v_mul_f64 v[66:67], v[22:23], s[34:35]
	v_add_f64 v[188:189], v[68:69], v[58:59]
	v_mul_f64 v[70:71], v[20:21], s[34:35]
	v_add_f64 v[72:73], v[0:1], -v[42:43]
	v_fma_f64 v[64:65], v[64:65], v[126:127], -v[4:5]
	v_add_f64 v[4:5], v[60:61], -v[46:47]
	v_add_f64 v[166:167], v[0:1], v[42:43]
	s_delay_alu instid0(VALU_DEP_4) | instskip(SKIP_1) | instid1(VALU_DEP_4)
	v_mul_f64 v[82:83], v[72:73], s[18:19]
	v_mul_f64 v[86:87], v[72:73], s[16:17]
	v_mul_f64 v[80:81], v[4:5], s[34:35]
	s_mov_b32 s35, 0xbfddbe06
	v_mul_f64 v[88:89], v[72:73], s[20:21]
	v_mul_f64 v[90:91], v[72:73], s[28:29]
	;; [unrolled: 1-line block ×4, first 2 shown]
	v_add_f64 v[94:95], v[2:3], v[64:65]
	v_mul_f64 v[204:205], v[4:5], s[20:21]
	v_mul_f64 v[224:225], v[4:5], s[24:25]
	s_delay_alu instid0(VALU_DEP_3)
	v_fma_f64 v[96:97], v[94:95], s[14:15], v[82:83]
	v_fma_f64 v[82:83], v[94:95], s[14:15], -v[82:83]
	v_fma_f64 v[98:99], v[94:95], s[8:9], v[86:87]
	v_fma_f64 v[86:87], v[94:95], s[8:9], -v[86:87]
	;; [unrolled: 2-line block ×6, first 2 shown]
	v_add_f64 v[94:95], v[2:3], -v[64:65]
	v_add_f64 v[0:1], v[38:39], v[96:97]
	v_add_f64 v[82:83], v[38:39], v[82:83]
	;; [unrolled: 1-line block ×8, first 2 shown]
	v_mul_f64 v[132:133], v[94:95], s[18:19]
	v_mul_f64 v[134:135], v[94:95], s[16:17]
	;; [unrolled: 1-line block ×6, first 2 shown]
	s_mov_b32 s35, 0x3fcea1e5
	s_mov_b32 s34, s18
	v_fma_f64 v[168:169], v[166:167], s[14:15], -v[132:133]
	v_fma_f64 v[132:133], v[166:167], s[14:15], v[132:133]
	v_fma_f64 v[170:171], v[166:167], s[8:9], -v[134:135]
	v_fma_f64 v[134:135], v[166:167], s[8:9], v[134:135]
	;; [unrolled: 2-line block ×5, first 2 shown]
	v_fma_f64 v[182:183], v[166:167], s[22:23], v[94:95]
	v_fma_f64 v[94:95], v[166:167], s[22:23], -v[94:95]
	v_add_f64 v[166:167], v[38:39], v[2:3]
	v_add_f64 v[2:3], v[36:37], v[168:169]
	;; [unrolled: 1-line block ×15, first 2 shown]
	v_fma_f64 v[36:37], v[188:189], s[22:23], v[66:67]
	v_add_f64 v[170:171], v[38:39], v[88:89]
	v_add_f64 v[164:165], v[38:39], v[72:73]
	v_fma_f64 v[66:67], v[188:189], s[22:23], -v[66:67]
	s_delay_alu instid0(VALU_DEP_4) | instskip(SKIP_2) | instid1(VALU_DEP_4)
	v_add_f64 v[0:1], v[36:37], v[0:1]
	v_fma_f64 v[36:37], v[190:191], s[22:23], -v[70:71]
	v_fma_f64 v[70:71], v[190:191], s[22:23], v[70:71]
	v_add_f64 v[66:67], v[66:67], v[82:83]
	v_mul_f64 v[82:83], v[20:21], s[24:25]
	s_delay_alu instid0(VALU_DEP_4) | instskip(SKIP_2) | instid1(VALU_DEP_2)
	v_add_f64 v[2:3], v[36:37], v[2:3]
	v_mul_f64 v[36:37], v[18:19], s[16:17]
	v_add_f64 v[70:71], v[70:71], v[96:97]
	v_fma_f64 v[38:39], v[192:193], s[8:9], v[36:37]
	v_fma_f64 v[36:37], v[192:193], s[8:9], -v[36:37]
	s_delay_alu instid0(VALU_DEP_2) | instskip(SKIP_1) | instid1(VALU_DEP_3)
	v_add_f64 v[0:1], v[38:39], v[0:1]
	v_mul_f64 v[38:39], v[16:17], s[16:17]
	v_add_f64 v[36:37], v[36:37], v[66:67]
	s_delay_alu instid0(VALU_DEP_2) | instskip(SKIP_1) | instid1(VALU_DEP_2)
	v_fma_f64 v[72:73], v[194:195], s[8:9], -v[38:39]
	v_fma_f64 v[38:39], v[194:195], s[8:9], v[38:39]
	v_add_f64 v[2:3], v[72:73], v[2:3]
	v_mul_f64 v[72:73], v[14:15], s[26:27]
	s_delay_alu instid0(VALU_DEP_3) | instskip(SKIP_1) | instid1(VALU_DEP_3)
	v_add_f64 v[38:39], v[38:39], v[70:71]
	v_fma_f64 v[70:71], v[212:213], s[10:11], v[214:215]
	v_fma_f64 v[88:89], v[196:197], s[12:13], v[72:73]
	v_fma_f64 v[66:67], v[196:197], s[12:13], -v[72:73]
	v_fma_f64 v[72:73], v[190:191], s[10:11], -v[82:83]
	v_fma_f64 v[82:83], v[190:191], s[10:11], v[82:83]
	s_delay_alu instid0(VALU_DEP_4)
	v_add_f64 v[0:1], v[88:89], v[0:1]
	v_mul_f64 v[88:89], v[12:13], s[26:27]
	v_add_f64 v[36:37], v[66:67], v[36:37]
	v_add_f64 v[72:73], v[72:73], v[132:133]
	v_add_f64 v[82:83], v[82:83], v[134:135]
	v_mul_f64 v[134:135], v[8:9], s[34:35]
	v_fma_f64 v[94:95], v[198:199], s[12:13], -v[88:89]
	v_fma_f64 v[66:67], v[198:199], s[12:13], v[88:89]
	v_mul_f64 v[88:89], v[18:19], s[30:31]
	s_delay_alu instid0(VALU_DEP_3) | instskip(SKIP_1) | instid1(VALU_DEP_4)
	v_add_f64 v[2:3], v[94:95], v[2:3]
	v_mul_f64 v[94:95], v[8:9], s[20:21]
	v_add_f64 v[38:39], v[66:67], v[38:39]
	s_delay_alu instid0(VALU_DEP_2) | instskip(SKIP_2) | instid1(VALU_DEP_3)
	v_fma_f64 v[202:203], v[200:201], s[0:1], v[94:95]
	v_fma_f64 v[66:67], v[200:201], s[0:1], -v[94:95]
	v_fma_f64 v[94:95], v[192:193], s[12:13], v[88:89]
	v_add_f64 v[0:1], v[202:203], v[0:1]
	v_add_f64 v[202:203], v[114:115], v[44:45]
	s_delay_alu instid0(VALU_DEP_4) | instskip(NEXT) | instid1(VALU_DEP_2)
	v_add_f64 v[36:37], v[66:67], v[36:37]
	v_fma_f64 v[66:67], v[202:203], s[0:1], v[204:205]
	v_fma_f64 v[206:207], v[202:203], s[0:1], -v[204:205]
	v_mul_f64 v[204:205], v[6:7], s[20:21]
	s_delay_alu instid0(VALU_DEP_3) | instskip(SKIP_1) | instid1(VALU_DEP_4)
	v_add_f64 v[66:67], v[66:67], v[38:39]
	v_fma_f64 v[38:39], v[208:209], s[10:11], -v[210:211]
	v_add_f64 v[206:207], v[206:207], v[2:3]
	v_fma_f64 v[2:3], v[208:209], s[10:11], v[210:211]
	v_mul_f64 v[210:211], v[20:21], s[20:21]
	s_delay_alu instid0(VALU_DEP_4)
	v_add_f64 v[38:39], v[38:39], v[36:37]
	v_add_f64 v[36:37], v[70:71], v[66:67]
	v_mul_f64 v[66:67], v[22:23], s[24:25]
	v_add_f64 v[2:3], v[2:3], v[0:1]
	v_fma_f64 v[0:1], v[212:213], s[10:11], -v[214:215]
	v_mul_f64 v[214:215], v[18:19], s[18:19]
	s_mov_b32 s25, 0x3fedeba7
	s_mov_b32 s24, s20
	s_delay_alu instid0(VALU_DEP_4) | instskip(SKIP_1) | instid1(VALU_DEP_4)
	v_fma_f64 v[70:71], v[188:189], s[10:11], v[66:67]
	v_fma_f64 v[66:67], v[188:189], s[10:11], -v[66:67]
	v_add_f64 v[0:1], v[0:1], v[206:207]
	v_mul_f64 v[206:207], v[10:11], s[20:21]
	s_delay_alu instid0(VALU_DEP_4) | instskip(NEXT) | instid1(VALU_DEP_4)
	v_add_f64 v[70:71], v[70:71], v[98:99]
	v_add_f64 v[66:67], v[66:67], v[86:87]
	v_fma_f64 v[86:87], v[192:193], s[12:13], -v[88:89]
	v_fma_f64 v[88:89], v[192:193], s[22:23], v[32:33]
	v_fma_f64 v[32:33], v[192:193], s[22:23], -v[32:33]
	v_add_f64 v[70:71], v[94:95], v[70:71]
	v_mul_f64 v[94:95], v[16:17], s[30:31]
	v_add_f64 v[66:67], v[86:87], v[66:67]
	s_delay_alu instid0(VALU_DEP_2) | instskip(SKIP_1) | instid1(VALU_DEP_2)
	v_fma_f64 v[96:97], v[194:195], s[12:13], -v[94:95]
	v_fma_f64 v[86:87], v[194:195], s[12:13], v[94:95]
	v_add_f64 v[72:73], v[96:97], v[72:73]
	v_mul_f64 v[96:97], v[14:15], s[34:35]
	s_delay_alu instid0(VALU_DEP_3) | instskip(NEXT) | instid1(VALU_DEP_2)
	v_add_f64 v[82:83], v[86:87], v[82:83]
	v_fma_f64 v[98:99], v[196:197], s[14:15], v[96:97]
	v_fma_f64 v[86:87], v[196:197], s[14:15], -v[96:97]
	s_delay_alu instid0(VALU_DEP_2) | instskip(SKIP_1) | instid1(VALU_DEP_3)
	v_add_f64 v[70:71], v[98:99], v[70:71]
	v_mul_f64 v[98:99], v[12:13], s[34:35]
	v_add_f64 v[66:67], v[86:87], v[66:67]
	s_delay_alu instid0(VALU_DEP_2) | instskip(SKIP_2) | instid1(VALU_DEP_3)
	v_fma_f64 v[132:133], v[198:199], s[14:15], -v[98:99]
	v_fma_f64 v[86:87], v[198:199], s[14:15], v[98:99]
	v_mul_f64 v[98:99], v[20:21], s[36:37]
	v_add_f64 v[72:73], v[132:133], v[72:73]
	v_fma_f64 v[132:133], v[200:201], s[22:23], v[74:75]
	v_fma_f64 v[74:75], v[200:201], s[22:23], -v[74:75]
	v_add_f64 v[82:83], v[86:87], v[82:83]
	v_fma_f64 v[86:87], v[212:213], s[0:1], v[206:207]
	s_delay_alu instid0(VALU_DEP_4) | instskip(SKIP_4) | instid1(VALU_DEP_4)
	v_add_f64 v[70:71], v[132:133], v[70:71]
	v_fma_f64 v[132:133], v[202:203], s[22:23], -v[80:81]
	v_add_f64 v[66:67], v[74:75], v[66:67]
	v_fma_f64 v[74:75], v[202:203], s[22:23], v[80:81]
	v_fma_f64 v[80:81], v[208:209], s[0:1], -v[204:205]
	v_add_f64 v[132:133], v[132:133], v[72:73]
	v_fma_f64 v[72:73], v[208:209], s[0:1], v[204:205]
	s_delay_alu instid0(VALU_DEP_4) | instskip(NEXT) | instid1(VALU_DEP_4)
	v_add_f64 v[74:75], v[74:75], v[82:83]
	v_add_f64 v[82:83], v[80:81], v[66:67]
	v_mul_f64 v[66:67], v[22:23], s[36:37]
	v_mul_f64 v[204:205], v[6:7], s[26:27]
	v_add_f64 v[72:73], v[72:73], v[70:71]
	v_add_f64 v[80:81], v[86:87], v[74:75]
	v_fma_f64 v[86:87], v[190:191], s[8:9], -v[98:99]
	v_fma_f64 v[74:75], v[188:189], s[8:9], v[66:67]
	v_fma_f64 v[70:71], v[212:213], s[0:1], -v[206:207]
	v_mul_f64 v[206:207], v[22:23], s[20:21]
	v_fma_f64 v[66:67], v[188:189], s[8:9], -v[66:67]
	v_fma_f64 v[98:99], v[190:191], s[8:9], v[98:99]
	v_mul_f64 v[22:23], v[22:23], s[30:31]
	v_add_f64 v[86:87], v[86:87], v[168:169]
	v_add_f64 v[74:75], v[74:75], v[124:125]
	v_mul_f64 v[124:125], v[14:15], s[28:29]
	v_add_f64 v[70:71], v[70:71], v[132:133]
	v_mul_f64 v[132:133], v[12:13], s[28:29]
	v_mul_f64 v[168:169], v[4:5], s[34:35]
	v_add_f64 v[66:67], v[66:67], v[170:171]
	v_add_f64 v[98:99], v[98:99], v[136:137]
	v_mul_f64 v[14:15], v[14:15], s[20:21]
	v_mul_f64 v[12:13], v[12:13], s[20:21]
	v_add_f64 v[74:75], v[88:89], v[74:75]
	v_fma_f64 v[88:89], v[194:195], s[22:23], -v[34:35]
	v_fma_f64 v[34:35], v[194:195], s[22:23], v[34:35]
	v_add_f64 v[32:33], v[32:33], v[66:67]
	v_fma_f64 v[66:67], v[196:197], s[10:11], -v[124:125]
	s_delay_alu instid0(VALU_DEP_4)
	v_add_f64 v[86:87], v[88:89], v[86:87]
	v_fma_f64 v[88:89], v[196:197], s[10:11], v[124:125]
	v_add_f64 v[34:35], v[34:35], v[98:99]
	v_mul_f64 v[124:125], v[10:11], s[18:19]
	v_add_f64 v[32:33], v[66:67], v[32:33]
	v_fma_f64 v[66:67], v[198:199], s[10:11], v[132:133]
	v_add_f64 v[74:75], v[88:89], v[74:75]
	v_fma_f64 v[88:89], v[198:199], s[10:11], -v[132:133]
	s_delay_alu instid0(VALU_DEP_3) | instskip(SKIP_1) | instid1(VALU_DEP_3)
	v_add_f64 v[34:35], v[66:67], v[34:35]
	v_fma_f64 v[66:67], v[200:201], s[14:15], -v[134:135]
	v_add_f64 v[86:87], v[88:89], v[86:87]
	v_fma_f64 v[88:89], v[200:201], s[14:15], v[134:135]
	s_delay_alu instid0(VALU_DEP_3) | instskip(SKIP_1) | instid1(VALU_DEP_3)
	v_add_f64 v[32:33], v[66:67], v[32:33]
	v_fma_f64 v[66:67], v[202:203], s[14:15], v[168:169]
	v_add_f64 v[74:75], v[88:89], v[74:75]
	v_fma_f64 v[88:89], v[202:203], s[14:15], -v[168:169]
	s_delay_alu instid0(VALU_DEP_3) | instskip(SKIP_1) | instid1(VALU_DEP_3)
	v_add_f64 v[66:67], v[66:67], v[34:35]
	v_fma_f64 v[34:35], v[208:209], s[12:13], -v[204:205]
	v_add_f64 v[86:87], v[88:89], v[86:87]
	v_fma_f64 v[88:89], v[208:209], s[12:13], v[204:205]
	s_delay_alu instid0(VALU_DEP_3) | instskip(NEXT) | instid1(VALU_DEP_2)
	v_add_f64 v[34:35], v[34:35], v[32:33]
	v_add_f64 v[88:89], v[88:89], v[74:75]
	v_mul_f64 v[74:75], v[10:11], s[26:27]
	v_add_f64 v[10:11], v[184:185], v[78:79]
	s_delay_alu instid0(VALU_DEP_2) | instskip(SKIP_1) | instid1(VALU_DEP_3)
	v_fma_f64 v[94:95], v[212:213], s[12:13], -v[74:75]
	v_fma_f64 v[74:75], v[212:213], s[12:13], v[74:75]
	v_add_f64 v[10:11], v[10:11], v[84:85]
	s_delay_alu instid0(VALU_DEP_3) | instskip(SKIP_1) | instid1(VALU_DEP_4)
	v_add_f64 v[86:87], v[94:95], v[86:87]
	v_fma_f64 v[94:95], v[188:189], s[0:1], -v[206:207]
	v_add_f64 v[32:33], v[74:75], v[66:67]
	v_fma_f64 v[66:67], v[188:189], s[14:15], v[226:227]
	v_add_f64 v[10:11], v[10:11], v[62:63]
	s_delay_alu instid0(VALU_DEP_4) | instskip(SKIP_1) | instid1(VALU_DEP_4)
	v_add_f64 v[90:91], v[94:95], v[90:91]
	v_fma_f64 v[94:95], v[190:191], s[0:1], v[210:211]
	v_add_f64 v[66:67], v[66:67], v[126:127]
	s_delay_alu instid0(VALU_DEP_4) | instskip(NEXT) | instid1(VALU_DEP_3)
	v_add_f64 v[10:11], v[10:11], v[114:115]
	v_add_f64 v[92:93], v[94:95], v[92:93]
	v_fma_f64 v[94:95], v[192:193], s[14:15], -v[214:215]
	s_delay_alu instid0(VALU_DEP_3) | instskip(NEXT) | instid1(VALU_DEP_2)
	v_add_f64 v[10:11], v[10:11], v[177:178]
	v_add_f64 v[90:91], v[94:95], v[90:91]
	v_fma_f64 v[94:95], v[194:195], s[14:15], v[216:217]
	s_delay_alu instid0(VALU_DEP_3) | instskip(NEXT) | instid1(VALU_DEP_2)
	v_add_f64 v[10:11], v[10:11], v[104:105]
	v_add_f64 v[92:93], v[94:95], v[92:93]
	v_fma_f64 v[94:95], v[196:197], s[8:9], -v[218:219]
	s_delay_alu instid0(VALU_DEP_3) | instskip(NEXT) | instid1(VALU_DEP_2)
	v_add_f64 v[10:11], v[10:11], v[44:45]
	v_add_f64 v[90:91], v[94:95], v[90:91]
	v_fma_f64 v[94:95], v[198:199], s[8:9], v[220:221]
	s_delay_alu instid0(VALU_DEP_3) | instskip(NEXT) | instid1(VALU_DEP_2)
	;; [unrolled: 8-line block ×3, first 2 shown]
	v_add_f64 v[40:41], v[10:11], v[40:41]
	v_add_f64 v[94:95], v[94:95], v[92:93]
	v_fma_f64 v[92:93], v[208:209], s[22:23], -v[24:25]
	v_fma_f64 v[24:25], v[208:209], s[22:23], v[24:25]
	s_delay_alu instid0(VALU_DEP_2) | instskip(SKIP_1) | instid1(VALU_DEP_1)
	v_add_f64 v[92:93], v[92:93], v[90:91]
	v_fma_f64 v[90:91], v[212:213], s[22:23], v[26:27]
	v_add_f64 v[90:91], v[90:91], v[94:95]
	v_fma_f64 v[94:95], v[188:189], s[14:15], -v[226:227]
	v_mov_b32_e32 v227, v240
	s_delay_alu instid0(VALU_DEP_2) | instskip(SKIP_2) | instid1(VALU_DEP_2)
	v_add_f64 v[94:95], v[94:95], v[174:175]
	v_mul_f64 v[174:175], v[20:21], s[18:19]
	v_mul_f64 v[20:21], v[20:21], s[30:31]
	v_fma_f64 v[96:97], v[190:191], s[14:15], v[174:175]
	v_fma_f64 v[74:75], v[190:191], s[14:15], -v[174:175]
	s_delay_alu instid0(VALU_DEP_2) | instskip(SKIP_1) | instid1(VALU_DEP_3)
	v_add_f64 v[96:97], v[96:97], v[138:139]
	v_mul_f64 v[138:139], v[18:19], s[24:25]
	v_add_f64 v[74:75], v[74:75], v[172:173]
	v_mul_f64 v[18:19], v[18:19], s[28:29]
	s_delay_alu instid0(VALU_DEP_3) | instskip(SKIP_1) | instid1(VALU_DEP_2)
	v_fma_f64 v[228:229], v[192:193], s[0:1], -v[138:139]
	v_fma_f64 v[98:99], v[192:193], s[0:1], v[138:139]
	v_add_f64 v[94:95], v[228:229], v[94:95]
	v_mul_f64 v[228:229], v[16:17], s[24:25]
	s_delay_alu instid0(VALU_DEP_3) | instskip(SKIP_1) | instid1(VALU_DEP_3)
	v_add_f64 v[66:67], v[98:99], v[66:67]
	v_mul_f64 v[16:17], v[16:17], s[28:29]
	v_fma_f64 v[230:231], v[194:195], s[0:1], v[228:229]
	v_fma_f64 v[98:99], v[194:195], s[0:1], -v[228:229]
	s_delay_alu instid0(VALU_DEP_2) | instskip(SKIP_2) | instid1(VALU_DEP_4)
	v_add_f64 v[96:97], v[230:231], v[96:97]
	v_fma_f64 v[230:231], v[196:197], s[22:23], -v[28:29]
	v_fma_f64 v[28:29], v[196:197], s[22:23], v[28:29]
	v_add_f64 v[74:75], v[98:99], v[74:75]
	v_fma_f64 v[98:99], v[192:193], s[14:15], v[214:215]
	s_delay_alu instid0(VALU_DEP_4) | instskip(SKIP_3) | instid1(VALU_DEP_3)
	v_add_f64 v[94:95], v[230:231], v[94:95]
	v_fma_f64 v[230:231], v[198:199], s[22:23], v[30:31]
	v_add_f64 v[28:29], v[28:29], v[66:67]
	v_fma_f64 v[30:31], v[198:199], s[22:23], -v[30:31]
	v_add_f64 v[96:97], v[230:231], v[96:97]
	v_mul_f64 v[230:231], v[8:9], s[30:31]
	s_delay_alu instid0(VALU_DEP_3) | instskip(SKIP_1) | instid1(VALU_DEP_3)
	v_add_f64 v[30:31], v[30:31], v[74:75]
	v_fma_f64 v[74:75], v[212:213], s[8:9], -v[238:239]
	v_fma_f64 v[232:233], v[200:201], s[12:13], -v[230:231]
	v_fma_f64 v[66:67], v[200:201], s[12:13], v[230:231]
	s_delay_alu instid0(VALU_DEP_2) | instskip(SKIP_1) | instid1(VALU_DEP_3)
	v_add_f64 v[94:95], v[232:233], v[94:95]
	v_mul_f64 v[232:233], v[4:5], s[30:31]
	v_add_f64 v[28:29], v[66:67], v[28:29]
	s_delay_alu instid0(VALU_DEP_2) | instskip(SKIP_1) | instid1(VALU_DEP_2)
	v_fma_f64 v[66:67], v[202:203], s[12:13], -v[232:233]
	v_fma_f64 v[234:235], v[202:203], s[12:13], v[232:233]
	v_add_f64 v[66:67], v[66:67], v[30:31]
	v_fma_f64 v[30:31], v[208:209], s[8:9], v[236:237]
	s_delay_alu instid0(VALU_DEP_3) | instskip(SKIP_1) | instid1(VALU_DEP_3)
	v_add_f64 v[234:235], v[234:235], v[96:97]
	v_fma_f64 v[96:97], v[208:209], s[8:9], -v[236:237]
	v_add_f64 v[30:31], v[30:31], v[28:29]
	v_add_f64 v[28:29], v[74:75], v[66:67]
	v_fma_f64 v[66:67], v[188:189], s[0:1], v[206:207]
	v_fma_f64 v[74:75], v[190:191], s[0:1], -v[210:211]
	v_add_f64 v[96:97], v[96:97], v[94:95]
	v_fma_f64 v[94:95], v[212:213], s[8:9], v[238:239]
	s_delay_alu instid0(VALU_DEP_4) | instskip(NEXT) | instid1(VALU_DEP_4)
	v_add_f64 v[66:67], v[66:67], v[128:129]
	v_add_f64 v[74:75], v[74:75], v[180:181]
	s_delay_alu instid0(VALU_DEP_3) | instskip(NEXT) | instid1(VALU_DEP_3)
	v_add_f64 v[94:95], v[94:95], v[234:235]
	v_add_f64 v[66:67], v[98:99], v[66:67]
	v_fma_f64 v[98:99], v[194:195], s[14:15], -v[216:217]
	s_delay_alu instid0(VALU_DEP_1) | instskip(SKIP_1) | instid1(VALU_DEP_1)
	v_add_f64 v[74:75], v[98:99], v[74:75]
	v_fma_f64 v[98:99], v[196:197], s[8:9], v[218:219]
	v_add_f64 v[66:67], v[98:99], v[66:67]
	v_fma_f64 v[98:99], v[198:199], s[8:9], -v[220:221]
	s_delay_alu instid0(VALU_DEP_1) | instskip(SKIP_1) | instid1(VALU_DEP_1)
	v_add_f64 v[74:75], v[98:99], v[74:75]
	v_fma_f64 v[98:99], v[200:201], s[10:11], v[222:223]
	v_add_f64 v[66:67], v[98:99], v[66:67]
	v_fma_f64 v[98:99], v[202:203], s[10:11], -v[224:225]
	s_delay_alu instid0(VALU_DEP_1) | instskip(SKIP_1) | instid1(VALU_DEP_4)
	v_add_f64 v[74:75], v[98:99], v[74:75]
	v_fma_f64 v[98:99], v[212:213], s[22:23], -v[26:27]
	v_add_f64 v[26:27], v[24:25], v[66:67]
	v_fma_f64 v[66:67], v[188:189], s[12:13], -v[22:23]
	v_fma_f64 v[22:23], v[188:189], s[12:13], v[22:23]
	s_delay_alu instid0(VALU_DEP_4) | instskip(SKIP_1) | instid1(VALU_DEP_4)
	v_add_f64 v[24:25], v[98:99], v[74:75]
	v_fma_f64 v[74:75], v[190:191], s[12:13], v[20:21]
	v_add_f64 v[66:67], v[66:67], v[164:165]
	v_fma_f64 v[98:99], v[192:193], s[10:11], -v[18:19]
	v_fma_f64 v[20:21], v[190:191], s[12:13], -v[20:21]
	v_fma_f64 v[18:19], v[192:193], s[10:11], v[18:19]
	v_add_f64 v[22:23], v[22:23], v[130:131]
	v_add_f64 v[74:75], v[74:75], v[182:183]
	;; [unrolled: 1-line block ×3, first 2 shown]
	v_fma_f64 v[98:99], v[194:195], s[10:11], v[16:17]
	v_fma_f64 v[16:17], v[194:195], s[10:11], -v[16:17]
	v_add_f64 v[20:21], v[20:21], v[186:187]
	v_add_f64 v[18:19], v[18:19], v[22:23]
	s_delay_alu instid0(VALU_DEP_4) | instskip(SKIP_3) | instid1(VALU_DEP_3)
	v_add_f64 v[74:75], v[98:99], v[74:75]
	v_fma_f64 v[98:99], v[196:197], s[0:1], -v[14:15]
	v_fma_f64 v[14:15], v[196:197], s[0:1], v[14:15]
	v_add_f64 v[16:17], v[16:17], v[20:21]
	v_add_f64 v[66:67], v[98:99], v[66:67]
	v_fma_f64 v[98:99], v[198:199], s[0:1], v[12:13]
	v_fma_f64 v[12:13], v[198:199], s[0:1], -v[12:13]
	v_add_f64 v[14:15], v[14:15], v[18:19]
	v_fma_f64 v[18:19], v[212:213], s[14:15], -v[124:125]
	s_delay_alu instid0(VALU_DEP_4) | instskip(SKIP_2) | instid1(VALU_DEP_2)
	v_add_f64 v[74:75], v[98:99], v[74:75]
	v_mul_f64 v[98:99], v[8:9], s[16:17]
	v_add_f64 v[12:13], v[12:13], v[16:17]
	v_fma_f64 v[8:9], v[200:201], s[8:9], -v[98:99]
	v_fma_f64 v[20:21], v[200:201], s[8:9], v[98:99]
	s_delay_alu instid0(VALU_DEP_2) | instskip(SKIP_1) | instid1(VALU_DEP_3)
	v_add_f64 v[8:9], v[8:9], v[66:67]
	v_mul_f64 v[66:67], v[4:5], s[16:17]
	v_add_f64 v[14:15], v[20:21], v[14:15]
	s_delay_alu instid0(VALU_DEP_2) | instskip(SKIP_1) | instid1(VALU_DEP_2)
	v_fma_f64 v[4:5], v[202:203], s[8:9], v[66:67]
	v_fma_f64 v[22:23], v[202:203], s[8:9], -v[66:67]
	v_add_f64 v[4:5], v[4:5], v[74:75]
	v_mul_f64 v[74:75], v[6:7], s[18:19]
	s_delay_alu instid0(VALU_DEP_3) | instskip(NEXT) | instid1(VALU_DEP_2)
	v_add_f64 v[12:13], v[22:23], v[12:13]
	v_fma_f64 v[6:7], v[208:209], s[14:15], -v[74:75]
	v_fma_f64 v[16:17], v[208:209], s[14:15], v[74:75]
	s_delay_alu instid0(VALU_DEP_3) | instskip(NEXT) | instid1(VALU_DEP_3)
	v_add_f64 v[12:13], v[18:19], v[12:13]
	v_add_f64 v[6:7], v[6:7], v[8:9]
	v_fma_f64 v[8:9], v[212:213], s[14:15], v[124:125]
	s_delay_alu instid0(VALU_DEP_4)
	v_add_f64 v[14:15], v[16:17], v[14:15]
	s_clause 0x1
	scratch_load_b32 v16, off, off offset:156
	scratch_load_b32 v17, off, off offset:152
	v_add_f64 v[4:5], v[8:9], v[4:5]
	v_add_f64 v[8:9], v[166:167], v[68:69]
	s_delay_alu instid0(VALU_DEP_1) | instskip(NEXT) | instid1(VALU_DEP_1)
	v_add_f64 v[8:9], v[8:9], v[76:77]
	v_add_f64 v[8:9], v[8:9], v[56:57]
	s_delay_alu instid0(VALU_DEP_1) | instskip(NEXT) | instid1(VALU_DEP_1)
	;; [unrolled: 3-line block ×3, first 2 shown]
	v_add_f64 v[8:9], v[8:9], v[112:113]
	v_add_f64 v[8:9], v[8:9], v[46:47]
	s_delay_alu instid0(VALU_DEP_1) | instskip(SKIP_3) | instid1(VALU_DEP_1)
	v_add_f64 v[8:9], v[8:9], v[54:55]
	s_waitcnt vmcnt(1)
	v_mul_u32_u24_e32 v16, 0x75, v16
	s_waitcnt vmcnt(0)
	v_add_lshl_u32 v16, v16, v17, 4
	s_delay_alu instid0(VALU_DEP_3) | instskip(NEXT) | instid1(VALU_DEP_1)
	v_add_f64 v[8:9], v[8:9], v[50:51]
	v_add_f64 v[8:9], v[8:9], v[58:59]
	s_delay_alu instid0(VALU_DEP_1)
	v_add_f64 v[10:11], v[8:9], v[64:65]
	v_add_f64 v[8:9], v[40:41], v[42:43]
	ds_store_b128 v16, v[90:93] offset:288
	ds_store_b128 v16, v[94:97] offset:432
	ds_store_b128 v16, v[32:35] offset:576
	ds_store_b128 v16, v[80:83] offset:720
	ds_store_b128 v16, v[36:39] offset:864
	ds_store_b128 v16, v[0:3] offset:1008
	ds_store_b128 v16, v[70:73] offset:1152
	ds_store_b128 v16, v[86:89] offset:1296
	ds_store_b128 v16, v[28:31] offset:1440
	ds_store_b128 v16, v[24:27] offset:1584
	ds_store_b128 v16, v[4:7] offset:144
	ds_store_b128 v16, v[8:11]
	ds_store_b128 v16, v[12:15] offset:1728
.LBB0_9:
	s_or_b32 exec_lo, exec_lo, s33
	s_waitcnt lgkmcnt(0)
	s_barrier
	buffer_gl0_inv
	ds_load_b128 v[0:3], v176 offset:5616
	ds_load_b128 v[4:7], v176 offset:11232
	ds_load_b128 v[8:11], v176 offset:7488
	ds_load_b128 v[12:15], v176 offset:13104
	ds_load_b128 v[16:19], v176 offset:9360
	ds_load_b128 v[20:23], v176 offset:14976
	ds_load_b128 v[24:27], v176 offset:3744
	s_mov_b32 s0, 0xe8584caa
	s_mov_b32 s1, 0xbfebb67a
	s_mov_b32 s9, 0x3febb67a
	s_mov_b32 s8, s0
	s_waitcnt lgkmcnt(6)
	v_mul_f64 v[28:29], v[102:103], v[2:3]
	s_waitcnt lgkmcnt(5)
	v_mul_f64 v[30:31], v[110:111], v[6:7]
	v_mul_f64 v[32:33], v[102:103], v[0:1]
	v_mul_f64 v[34:35], v[110:111], v[4:5]
	s_waitcnt lgkmcnt(4)
	v_mul_f64 v[36:37], v[102:103], v[10:11]
	s_waitcnt lgkmcnt(3)
	v_mul_f64 v[38:39], v[110:111], v[14:15]
	v_mul_f64 v[40:41], v[102:103], v[8:9]
	v_mul_f64 v[42:43], v[110:111], v[12:13]
	;; [unrolled: 6-line block ×3, first 2 shown]
	v_fma_f64 v[28:29], v[100:101], v[0:1], v[28:29]
	v_fma_f64 v[30:31], v[108:109], v[4:5], v[30:31]
	v_fma_f64 v[32:33], v[100:101], v[2:3], -v[32:33]
	v_fma_f64 v[34:35], v[108:109], v[6:7], -v[34:35]
	v_fma_f64 v[8:9], v[100:101], v[8:9], v[36:37]
	v_fma_f64 v[12:13], v[108:109], v[12:13], v[38:39]
	v_fma_f64 v[10:11], v[100:101], v[10:11], -v[40:41]
	v_fma_f64 v[14:15], v[108:109], v[14:15], -v[42:43]
	;; [unrolled: 4-line block ×3, first 2 shown]
	ds_load_b128 v[0:3], v176
	ds_load_b128 v[4:7], v176 offset:1872
	s_waitcnt lgkmcnt(0)
	s_barrier
	buffer_gl0_inv
	v_add_f64 v[48:49], v[0:1], v[28:29]
	v_add_f64 v[36:37], v[28:29], v[30:31]
	v_add_f64 v[28:29], v[28:29], -v[30:31]
	v_add_f64 v[38:39], v[32:33], v[34:35]
	v_add_f64 v[50:51], v[32:33], -v[34:35]
	v_add_f64 v[40:41], v[8:9], v[12:13]
	v_add_f64 v[32:33], v[2:3], v[32:33]
	;; [unrolled: 1-line block ×9, first 2 shown]
	v_add_f64 v[60:61], v[10:11], -v[14:15]
	v_add_f64 v[62:63], v[8:9], -v[12:13]
	;; [unrolled: 1-line block ×4, first 2 shown]
	v_fma_f64 v[36:37], v[36:37], -0.5, v[0:1]
	v_add_f64 v[0:1], v[48:49], v[30:31]
	v_fma_f64 v[38:39], v[38:39], -0.5, v[2:3]
	v_fma_f64 v[40:41], v[40:41], -0.5, v[4:5]
	v_add_f64 v[2:3], v[32:33], v[34:35]
	v_fma_f64 v[42:43], v[42:43], -0.5, v[6:7]
	v_add_f64 v[4:5], v[52:53], v[12:13]
	;; [unrolled: 2-line block ×4, first 2 shown]
	v_add_f64 v[10:11], v[58:59], v[22:23]
	v_fma_f64 v[12:13], v[50:51], s[0:1], v[36:37]
	v_fma_f64 v[16:17], v[50:51], s[8:9], v[36:37]
	;; [unrolled: 1-line block ×12, first 2 shown]
	ds_store_b128 v176, v[0:3]
	ds_store_b128 v176, v[12:15] offset:1872
	ds_store_b128 v176, v[16:19] offset:3744
	;; [unrolled: 1-line block ×8, first 2 shown]
	s_waitcnt lgkmcnt(0)
	s_barrier
	buffer_gl0_inv
	ds_load_b128 v[0:3], v176 offset:5616
	ds_load_b128 v[4:7], v176 offset:11232
	;; [unrolled: 1-line block ×7, first 2 shown]
	s_waitcnt lgkmcnt(6)
	v_mul_f64 v[28:29], v[118:119], v[2:3]
	s_waitcnt lgkmcnt(5)
	v_mul_f64 v[30:31], v[122:123], v[6:7]
	v_mul_f64 v[32:33], v[118:119], v[0:1]
	v_mul_f64 v[34:35], v[122:123], v[4:5]
	s_waitcnt lgkmcnt(4)
	v_mul_f64 v[36:37], v[150:151], v[10:11]
	s_waitcnt lgkmcnt(3)
	v_mul_f64 v[38:39], v[154:155], v[14:15]
	v_mul_f64 v[40:41], v[150:151], v[8:9]
	v_mul_f64 v[42:43], v[154:155], v[12:13]
	;; [unrolled: 6-line block ×3, first 2 shown]
	v_fma_f64 v[28:29], v[116:117], v[0:1], v[28:29]
	v_fma_f64 v[30:31], v[120:121], v[4:5], v[30:31]
	v_fma_f64 v[32:33], v[116:117], v[2:3], -v[32:33]
	v_fma_f64 v[34:35], v[120:121], v[6:7], -v[34:35]
	v_fma_f64 v[8:9], v[148:149], v[8:9], v[36:37]
	v_fma_f64 v[12:13], v[152:153], v[12:13], v[38:39]
	v_fma_f64 v[10:11], v[148:149], v[10:11], -v[40:41]
	v_fma_f64 v[14:15], v[152:153], v[14:15], -v[42:43]
	;; [unrolled: 4-line block ×3, first 2 shown]
	ds_load_b128 v[0:3], v176
	ds_load_b128 v[4:7], v176 offset:1872
	s_waitcnt lgkmcnt(1)
	v_add_f64 v[48:49], v[0:1], v[28:29]
	v_add_f64 v[36:37], v[28:29], v[30:31]
	v_add_f64 v[28:29], v[28:29], -v[30:31]
	v_add_f64 v[38:39], v[32:33], v[34:35]
	v_add_f64 v[50:51], v[32:33], -v[34:35]
	v_add_f64 v[40:41], v[8:9], v[12:13]
	v_add_f64 v[32:33], v[2:3], v[32:33]
	;; [unrolled: 1-line block ×3, first 2 shown]
	s_waitcnt lgkmcnt(0)
	v_add_f64 v[52:53], v[4:5], v[8:9]
	v_add_f64 v[44:45], v[16:17], v[20:21]
	;; [unrolled: 1-line block ×4, first 2 shown]
	v_add_f64 v[60:61], v[10:11], -v[14:15]
	v_add_f64 v[62:63], v[8:9], -v[12:13]
	v_add_f64 v[56:57], v[24:25], v[16:17]
	v_add_f64 v[58:59], v[26:27], v[18:19]
	v_add_f64 v[64:65], v[18:19], -v[22:23]
	v_add_f64 v[66:67], v[16:17], -v[20:21]
	v_fma_f64 v[36:37], v[36:37], -0.5, v[0:1]
	v_add_f64 v[0:1], v[48:49], v[30:31]
	v_fma_f64 v[38:39], v[38:39], -0.5, v[2:3]
	v_fma_f64 v[40:41], v[40:41], -0.5, v[4:5]
	v_add_f64 v[2:3], v[32:33], v[34:35]
	v_fma_f64 v[42:43], v[42:43], -0.5, v[6:7]
	v_add_f64 v[4:5], v[52:53], v[12:13]
	;; [unrolled: 2-line block ×4, first 2 shown]
	v_add_f64 v[10:11], v[58:59], v[22:23]
	v_fma_f64 v[16:17], v[50:51], s[8:9], v[36:37]
	v_fma_f64 v[12:13], v[50:51], s[0:1], v[36:37]
	v_fma_f64 v[18:19], v[28:29], s[0:1], v[38:39]
	v_fma_f64 v[14:15], v[28:29], s[8:9], v[38:39]
	v_fma_f64 v[24:25], v[60:61], s[8:9], v[40:41]
	v_fma_f64 v[20:21], v[60:61], s[0:1], v[40:41]
	v_fma_f64 v[26:27], v[62:63], s[0:1], v[42:43]
	v_fma_f64 v[22:23], v[62:63], s[8:9], v[42:43]
	v_fma_f64 v[28:29], v[64:65], s[0:1], v[44:45]
	v_fma_f64 v[32:33], v[64:65], s[8:9], v[44:45]
	v_fma_f64 v[30:31], v[66:67], s[8:9], v[46:47]
	v_fma_f64 v[34:35], v[66:67], s[0:1], v[46:47]
	v_mad_u64_u32 v[38:39], null, s4, v227, 0
	s_mul_i32 s0, s5, 0x15f0
	s_mul_hi_u32 s1, s4, 0x15f0
	ds_store_b128 v176, v[0:3]
	ds_store_b128 v176, v[4:7] offset:1872
	ds_store_b128 v176, v[16:19] offset:11232
	;; [unrolled: 1-line block ×8, first 2 shown]
	s_waitcnt lgkmcnt(0)
	s_barrier
	buffer_gl0_inv
	scratch_load_b64 v[4:5], off, off       ; 8-byte Folded Reload
	ds_load_b128 v[0:3], v176
	s_waitcnt vmcnt(0)
	v_mov_b32_e32 v42, v4
	ds_load_b128 v[4:7], v176 offset:5616
	ds_load_b128 v[8:11], v176 offset:11232
	;; [unrolled: 1-line block ×8, first 2 shown]
	s_clause 0x2
	scratch_load_b128 v[78:81], off, off offset:8
	scratch_load_b128 v[86:89], off, off offset:56
	;; [unrolled: 1-line block ×3, first 2 shown]
	v_mad_u64_u32 v[36:37], null, s6, v42, 0
	scratch_load_b128 v[94:97], off, off offset:88 ; 16-byte Folded Reload
	s_mul_i32 s6, s4, 0x15f0
	scratch_load_b128 v[90:93], off, off offset:72 ; 16-byte Folded Reload
	v_mad_u64_u32 v[40:41], null, s7, v42, v[37:38]
	s_delay_alu instid0(VALU_DEP_1) | instskip(SKIP_1) | instid1(VALU_DEP_1)
	v_mad_u64_u32 v[41:42], null, s5, v227, v[39:40]
	v_mov_b32_e32 v37, v40
	v_lshlrev_b64 v[36:37], 4, v[36:37]
	s_delay_alu instid0(VALU_DEP_3) | instskip(NEXT) | instid1(VALU_DEP_1)
	v_mov_b32_e32 v39, v41
	v_lshlrev_b64 v[38:39], 4, v[38:39]
	s_delay_alu instid0(VALU_DEP_3) | instskip(NEXT) | instid1(VALU_DEP_4)
	v_add_co_u32 v36, vcc_lo, s2, v36
	v_add_co_ci_u32_e32 v37, vcc_lo, s3, v37, vcc_lo
	s_add_i32 s2, s1, s0
	s_delay_alu instid0(VALU_DEP_2) | instskip(NEXT) | instid1(VALU_DEP_2)
	v_add_co_u32 v36, vcc_lo, v36, v38
	v_add_co_ci_u32_e32 v37, vcc_lo, v37, v39, vcc_lo
	s_mul_i32 s0, s5, 0xffffdb70
	s_delay_alu instid0(VALU_DEP_2) | instskip(NEXT) | instid1(VALU_DEP_2)
	v_add_co_u32 v38, vcc_lo, v36, s6
	v_add_co_ci_u32_e32 v39, vcc_lo, s2, v37, vcc_lo
	s_sub_i32 s3, s0, s4
	s_delay_alu instid0(VALU_DEP_2) | instskip(NEXT) | instid1(VALU_DEP_2)
	v_add_co_u32 v40, vcc_lo, v38, s6
	v_add_co_ci_u32_e32 v41, vcc_lo, s2, v39, vcc_lo
	s_mov_b32 s0, 0xad57473c
	s_mov_b32 s1, 0x3f4f1e63
	s_waitcnt vmcnt(4) lgkmcnt(8)
	v_mul_f64 v[42:43], v[80:81], v[2:3]
	v_mul_f64 v[44:45], v[80:81], v[0:1]
	scratch_load_b128 v[80:83], off, off offset:24 ; 16-byte Folded Reload
	s_waitcnt vmcnt(3) lgkmcnt(7)
	v_mul_f64 v[46:47], v[100:101], v[6:7]
	v_mul_f64 v[48:49], v[100:101], v[4:5]
	scratch_load_b128 v[100:103], off, off offset:120 ; 16-byte Folded Reload
	s_waitcnt lgkmcnt(3)
	v_mul_f64 v[62:63], v[88:89], v[22:23]
	v_mul_f64 v[64:65], v[88:89], v[20:21]
	s_waitcnt vmcnt(2)
	v_mul_f64 v[58:59], v[92:93], v[18:19]
	v_mul_f64 v[60:61], v[92:93], v[16:17]
	v_fma_f64 v[0:1], v[78:79], v[0:1], v[42:43]
	v_fma_f64 v[2:3], v[78:79], v[2:3], -v[44:45]
	v_mad_u64_u32 v[42:43], null, 0xffffdb70, s4, v[40:41]
	v_fma_f64 v[4:5], v[98:99], v[4:5], v[46:47]
	v_fma_f64 v[6:7], v[98:99], v[6:7], -v[48:49]
	v_fma_f64 v[20:21], v[86:87], v[20:21], v[62:63]
	v_fma_f64 v[22:23], v[86:87], v[22:23], -v[64:65]
	;; [unrolled: 2-line block ×3, first 2 shown]
	v_add_nc_u32_e32 v43, s3, v43
	v_add_co_u32 v44, vcc_lo, v42, s6
	s_delay_alu instid0(VALU_DEP_2) | instskip(NEXT) | instid1(VALU_DEP_2)
	v_add_co_ci_u32_e32 v45, vcc_lo, s2, v43, vcc_lo
	v_add_co_u32 v46, vcc_lo, v44, s6
	s_delay_alu instid0(VALU_DEP_2) | instskip(NEXT) | instid1(VALU_DEP_1)
	v_add_co_ci_u32_e32 v47, vcc_lo, s2, v45, vcc_lo
	v_mad_u64_u32 v[48:49], null, 0xffffdb70, s4, v[46:47]
	s_delay_alu instid0(VALU_DEP_1)
	v_add_nc_u32_e32 v49, s3, v49
	v_mul_f64 v[0:1], v[0:1], s[0:1]
	v_mul_f64 v[2:3], v[2:3], s[0:1]
	;; [unrolled: 1-line block ×8, first 2 shown]
	s_waitcnt vmcnt(1)
	v_mul_f64 v[54:55], v[82:83], v[14:15]
	v_mul_f64 v[56:57], v[82:83], v[12:13]
	scratch_load_b128 v[82:85], off, off offset:40 ; 16-byte Folded Reload
	s_waitcnt vmcnt(1) lgkmcnt(1)
	v_mul_f64 v[70:71], v[102:103], v[30:31]
	v_mul_f64 v[72:73], v[102:103], v[28:29]
	scratch_load_b128 v[102:105], off, off offset:136 ; 16-byte Folded Reload
	v_mul_f64 v[50:51], v[96:97], v[10:11]
	v_mul_f64 v[52:53], v[96:97], v[8:9]
	v_fma_f64 v[12:13], v[80:81], v[12:13], v[54:55]
	v_fma_f64 v[14:15], v[80:81], v[14:15], -v[56:57]
	v_fma_f64 v[28:29], v[100:101], v[28:29], v[70:71]
	v_fma_f64 v[30:31], v[100:101], v[30:31], -v[72:73]
	;; [unrolled: 2-line block ×3, first 2 shown]
	v_add_co_u32 v50, vcc_lo, v48, s6
	v_add_co_ci_u32_e32 v51, vcc_lo, s2, v49, vcc_lo
	s_delay_alu instid0(VALU_DEP_2) | instskip(NEXT) | instid1(VALU_DEP_2)
	v_add_co_u32 v52, vcc_lo, v50, s6
	v_add_co_ci_u32_e32 v53, vcc_lo, s2, v51, vcc_lo
	v_mul_f64 v[12:13], v[12:13], s[0:1]
	v_mul_f64 v[14:15], v[14:15], s[0:1]
	;; [unrolled: 1-line block ×6, first 2 shown]
	s_waitcnt vmcnt(1)
	v_mul_f64 v[66:67], v[84:85], v[26:27]
	v_mul_f64 v[68:69], v[84:85], v[24:25]
	s_waitcnt vmcnt(0) lgkmcnt(0)
	v_mul_f64 v[74:75], v[104:105], v[34:35]
	v_mul_f64 v[76:77], v[104:105], v[32:33]
	s_delay_alu instid0(VALU_DEP_4) | instskip(NEXT) | instid1(VALU_DEP_4)
	v_fma_f64 v[24:25], v[82:83], v[24:25], v[66:67]
	v_fma_f64 v[26:27], v[82:83], v[26:27], -v[68:69]
	s_delay_alu instid0(VALU_DEP_4) | instskip(NEXT) | instid1(VALU_DEP_4)
	v_fma_f64 v[32:33], v[102:103], v[32:33], v[74:75]
	v_fma_f64 v[34:35], v[102:103], v[34:35], -v[76:77]
	s_delay_alu instid0(VALU_DEP_4) | instskip(NEXT) | instid1(VALU_DEP_4)
	v_mul_f64 v[24:25], v[24:25], s[0:1]
	v_mul_f64 v[26:27], v[26:27], s[0:1]
	s_delay_alu instid0(VALU_DEP_4) | instskip(NEXT) | instid1(VALU_DEP_4)
	v_mul_f64 v[32:33], v[32:33], s[0:1]
	v_mul_f64 v[34:35], v[34:35], s[0:1]
	s_clause 0x4
	global_store_b128 v[36:37], v[0:3], off
	global_store_b128 v[38:39], v[4:7], off
	;; [unrolled: 1-line block ×9, first 2 shown]
.LBB0_10:
	s_nop 0
	s_sendmsg sendmsg(MSG_DEALLOC_VGPRS)
	s_endpgm
	.section	.rodata,"a",@progbits
	.p2align	6, 0x0
	.amdhsa_kernel bluestein_single_back_len1053_dim1_dp_op_CI_CI
		.amdhsa_group_segment_fixed_size 16848
		.amdhsa_private_segment_fixed_size 424
		.amdhsa_kernarg_size 104
		.amdhsa_user_sgpr_count 15
		.amdhsa_user_sgpr_dispatch_ptr 0
		.amdhsa_user_sgpr_queue_ptr 0
		.amdhsa_user_sgpr_kernarg_segment_ptr 1
		.amdhsa_user_sgpr_dispatch_id 0
		.amdhsa_user_sgpr_private_segment_size 0
		.amdhsa_wavefront_size32 1
		.amdhsa_uses_dynamic_stack 0
		.amdhsa_enable_private_segment 1
		.amdhsa_system_sgpr_workgroup_id_x 1
		.amdhsa_system_sgpr_workgroup_id_y 0
		.amdhsa_system_sgpr_workgroup_id_z 0
		.amdhsa_system_sgpr_workgroup_info 0
		.amdhsa_system_vgpr_workitem_id 0
		.amdhsa_next_free_vgpr 256
		.amdhsa_next_free_sgpr 48
		.amdhsa_reserve_vcc 1
		.amdhsa_float_round_mode_32 0
		.amdhsa_float_round_mode_16_64 0
		.amdhsa_float_denorm_mode_32 3
		.amdhsa_float_denorm_mode_16_64 3
		.amdhsa_dx10_clamp 1
		.amdhsa_ieee_mode 1
		.amdhsa_fp16_overflow 0
		.amdhsa_workgroup_processor_mode 1
		.amdhsa_memory_ordered 1
		.amdhsa_forward_progress 0
		.amdhsa_shared_vgpr_count 0
		.amdhsa_exception_fp_ieee_invalid_op 0
		.amdhsa_exception_fp_denorm_src 0
		.amdhsa_exception_fp_ieee_div_zero 0
		.amdhsa_exception_fp_ieee_overflow 0
		.amdhsa_exception_fp_ieee_underflow 0
		.amdhsa_exception_fp_ieee_inexact 0
		.amdhsa_exception_int_div_zero 0
	.end_amdhsa_kernel
	.text
.Lfunc_end0:
	.size	bluestein_single_back_len1053_dim1_dp_op_CI_CI, .Lfunc_end0-bluestein_single_back_len1053_dim1_dp_op_CI_CI
                                        ; -- End function
	.section	.AMDGPU.csdata,"",@progbits
; Kernel info:
; codeLenInByte = 19900
; NumSgprs: 50
; NumVgprs: 256
; ScratchSize: 424
; MemoryBound: 0
; FloatMode: 240
; IeeeMode: 1
; LDSByteSize: 16848 bytes/workgroup (compile time only)
; SGPRBlocks: 6
; VGPRBlocks: 31
; NumSGPRsForWavesPerEU: 50
; NumVGPRsForWavesPerEU: 256
; Occupancy: 5
; WaveLimiterHint : 1
; COMPUTE_PGM_RSRC2:SCRATCH_EN: 1
; COMPUTE_PGM_RSRC2:USER_SGPR: 15
; COMPUTE_PGM_RSRC2:TRAP_HANDLER: 0
; COMPUTE_PGM_RSRC2:TGID_X_EN: 1
; COMPUTE_PGM_RSRC2:TGID_Y_EN: 0
; COMPUTE_PGM_RSRC2:TGID_Z_EN: 0
; COMPUTE_PGM_RSRC2:TIDIG_COMP_CNT: 0
	.text
	.p2alignl 7, 3214868480
	.fill 96, 4, 3214868480
	.type	__hip_cuid_4031142cfbc9aaa8,@object ; @__hip_cuid_4031142cfbc9aaa8
	.section	.bss,"aw",@nobits
	.globl	__hip_cuid_4031142cfbc9aaa8
__hip_cuid_4031142cfbc9aaa8:
	.byte	0                               ; 0x0
	.size	__hip_cuid_4031142cfbc9aaa8, 1

	.ident	"AMD clang version 19.0.0git (https://github.com/RadeonOpenCompute/llvm-project roc-6.4.0 25133 c7fe45cf4b819c5991fe208aaa96edf142730f1d)"
	.section	".note.GNU-stack","",@progbits
	.addrsig
	.addrsig_sym __hip_cuid_4031142cfbc9aaa8
	.amdgpu_metadata
---
amdhsa.kernels:
  - .args:
      - .actual_access:  read_only
        .address_space:  global
        .offset:         0
        .size:           8
        .value_kind:     global_buffer
      - .actual_access:  read_only
        .address_space:  global
        .offset:         8
        .size:           8
        .value_kind:     global_buffer
      - .actual_access:  read_only
        .address_space:  global
        .offset:         16
        .size:           8
        .value_kind:     global_buffer
      - .actual_access:  read_only
        .address_space:  global
        .offset:         24
        .size:           8
        .value_kind:     global_buffer
      - .actual_access:  read_only
        .address_space:  global
        .offset:         32
        .size:           8
        .value_kind:     global_buffer
      - .offset:         40
        .size:           8
        .value_kind:     by_value
      - .address_space:  global
        .offset:         48
        .size:           8
        .value_kind:     global_buffer
      - .address_space:  global
        .offset:         56
        .size:           8
        .value_kind:     global_buffer
      - .address_space:  global
        .offset:         64
        .size:           8
        .value_kind:     global_buffer
      - .address_space:  global
        .offset:         72
        .size:           8
        .value_kind:     global_buffer
      - .offset:         80
        .size:           4
        .value_kind:     by_value
      - .address_space:  global
        .offset:         88
        .size:           8
        .value_kind:     global_buffer
      - .address_space:  global
        .offset:         96
        .size:           8
        .value_kind:     global_buffer
    .group_segment_fixed_size: 16848
    .kernarg_segment_align: 8
    .kernarg_segment_size: 104
    .language:       OpenCL C
    .language_version:
      - 2
      - 0
    .max_flat_workgroup_size: 117
    .name:           bluestein_single_back_len1053_dim1_dp_op_CI_CI
    .private_segment_fixed_size: 424
    .sgpr_count:     50
    .sgpr_spill_count: 0
    .symbol:         bluestein_single_back_len1053_dim1_dp_op_CI_CI.kd
    .uniform_work_group_size: 1
    .uses_dynamic_stack: false
    .vgpr_count:     256
    .vgpr_spill_count: 105
    .wavefront_size: 32
    .workgroup_processor_mode: 1
amdhsa.target:   amdgcn-amd-amdhsa--gfx1100
amdhsa.version:
  - 1
  - 2
...

	.end_amdgpu_metadata
